;; amdgpu-corpus repo=ROCm/rccl kind=compiled arch=gfx1030 opt=O3
	.amdgcn_target "amdgcn-amd-amdhsa--gfx1030"
	.amdhsa_code_object_version 6
	.text
	.p2align	2                               ; -- Begin function __ockl_fprintf_append_string_n
	.type	__ockl_fprintf_append_string_n,@function
__ockl_fprintf_append_string_n:         ; @__ockl_fprintf_append_string_n
; %bb.0:
	s_waitcnt vmcnt(0) expcnt(0) lgkmcnt(0)
	v_or_b32_e32 v2, 2, v0
	v_cmp_eq_u32_e32 vcc_lo, 0, v6
	v_mbcnt_lo_u32_b32 v35, -1, 0
	s_getpc_b64 s[4:5]
	s_add_u32 s4, s4, .str.3@rel32@lo+4
	s_addc_u32 s5, s5, .str.3@rel32@hi+12
	s_mov_b32 s14, 0
	s_cmp_lg_u64 s[4:5], 0
	v_cndmask_b32_e32 v34, v2, v0, vcc_lo
	s_cbranch_scc0 .LBB0_113
; %bb.1:
	s_load_dwordx2 s[6:7], s[8:9], 0x50
	v_and_b32_e32 v0, -3, v34
	s_getpc_b64 s[4:5]
	s_add_u32 s4, s4, .str.3@rel32@lo+4
	s_addc_u32 s5, s5, .str.3@rel32@hi+12
	v_mov_b32_e32 v11, v1
	v_mov_b32_e32 v2, s4
	v_and_b32_e32 v36, 2, v34
	v_mov_b32_e32 v7, 0
	v_mov_b32_e32 v3, s5
	;; [unrolled: 1-line block ×5, first 2 shown]
	s_mov_b32 s15, 0
	s_branch .LBB0_3
.LBB0_2:                                ;   in Loop: Header=BB0_3 Depth=1
	s_or_b32 exec_lo, exec_lo, s12
	v_sub_co_u32 v4, vcc_lo, v4, v30
	v_sub_co_ci_u32_e64 v5, null, v5, v31, vcc_lo
	v_add_co_u32 v2, s4, v2, v30
	v_add_co_ci_u32_e64 v3, null, v3, v31, s4
	v_cmp_eq_u64_e32 vcc_lo, 0, v[4:5]
	s_or_b32 s15, vcc_lo, s15
	s_andn2_b32 exec_lo, exec_lo, s15
	s_cbranch_execz .LBB0_85
.LBB0_3:                                ; =>This Loop Header: Depth=1
                                        ;     Child Loop BB0_6 Depth 2
                                        ;     Child Loop BB0_14 Depth 2
	;; [unrolled: 1-line block ×11, first 2 shown]
	v_cmp_gt_u64_e32 vcc_lo, 56, v[4:5]
	s_mov_b32 s5, exec_lo
	v_cndmask_b32_e32 v31, 0, v5, vcc_lo
	v_cndmask_b32_e32 v30, 56, v4, vcc_lo
	v_add_co_u32 v16, vcc_lo, v2, 8
	v_add_co_ci_u32_e64 v17, null, 0, v3, vcc_lo
	v_cmpx_gt_u64_e32 8, v[4:5]
	s_xor_b32 s5, exec_lo, s5
	s_cbranch_execz .LBB0_9
; %bb.4:                                ;   in Loop: Header=BB0_3 Depth=1
	s_waitcnt vmcnt(0)
	v_mov_b32_e32 v12, 0
	v_mov_b32_e32 v13, 0
	s_mov_b32 s12, exec_lo
	v_cmpx_ne_u64_e32 0, v[4:5]
	s_cbranch_execz .LBB0_8
; %bb.5:                                ;   in Loop: Header=BB0_3 Depth=1
	v_lshlrev_b64 v[14:15], 3, v[30:31]
	v_mov_b32_e32 v12, 0
	v_mov_b32_e32 v16, v3
	;; [unrolled: 1-line block ×4, first 2 shown]
	s_mov_b64 s[10:11], 0
	s_mov_b32 s13, 0
	.p2align	6
.LBB0_6:                                ;   Parent Loop BB0_3 Depth=1
                                        ; =>  This Inner Loop Header: Depth=2
	global_load_ubyte v0, v[15:16], off
	v_mov_b32_e32 v18, s14
	v_add_co_u32 v15, vcc_lo, v15, 1
	v_add_co_ci_u32_e64 v16, null, 0, v16, vcc_lo
	s_waitcnt vmcnt(0)
	v_and_b32_e32 v17, 0xffff, v0
	v_lshlrev_b64 v[17:18], s10, v[17:18]
	s_add_u32 s10, s10, 8
	s_addc_u32 s11, s11, 0
	v_cmp_eq_u32_e64 s4, s10, v14
	v_or_b32_e32 v13, v18, v13
	v_or_b32_e32 v12, v17, v12
	s_or_b32 s13, s4, s13
	s_andn2_b32 exec_lo, exec_lo, s13
	s_cbranch_execnz .LBB0_6
; %bb.7:                                ;   in Loop: Header=BB0_3 Depth=1
	s_or_b32 exec_lo, exec_lo, s13
.LBB0_8:                                ;   in Loop: Header=BB0_3 Depth=1
	s_or_b32 exec_lo, exec_lo, s12
	v_mov_b32_e32 v17, v3
	v_mov_b32_e32 v16, v2
.LBB0_9:                                ;   in Loop: Header=BB0_3 Depth=1
	s_or_saveexec_b32 s4, s5
	v_mov_b32_e32 v0, 0
	s_xor_b32 exec_lo, exec_lo, s4
	s_cbranch_execz .LBB0_11
; %bb.10:                               ;   in Loop: Header=BB0_3 Depth=1
	global_load_dwordx2 v[12:13], v[2:3], off
	v_add_nc_u32_e32 v0, -8, v30
.LBB0_11:                               ;   in Loop: Header=BB0_3 Depth=1
	s_or_b32 exec_lo, exec_lo, s4
	v_add_co_u32 v18, s4, v16, 8
	v_add_co_ci_u32_e64 v19, null, 0, v17, s4
                                        ; implicit-def: $vgpr14_vgpr15
	s_mov_b32 s4, exec_lo
	v_cmpx_gt_u32_e32 8, v0
	s_xor_b32 s12, exec_lo, s4
	s_cbranch_execz .LBB0_17
; %bb.12:                               ;   in Loop: Header=BB0_3 Depth=1
	v_mov_b32_e32 v14, 0
	v_mov_b32_e32 v15, 0
	s_mov_b32 s13, exec_lo
	v_cmpx_ne_u32_e32 0, v0
	s_cbranch_execz .LBB0_16
; %bb.13:                               ;   in Loop: Header=BB0_3 Depth=1
	v_mov_b32_e32 v14, 0
	v_mov_b32_e32 v15, 0
	s_mov_b64 s[4:5], 0
	s_mov_b32 s16, 0
	s_mov_b64 s[10:11], 0
	.p2align	6
.LBB0_14:                               ;   Parent Loop BB0_3 Depth=1
                                        ; =>  This Inner Loop Header: Depth=2
	v_add_co_u32 v18, vcc_lo, v16, s10
	v_add_co_ci_u32_e64 v19, null, s11, v17, vcc_lo
	s_add_u32 s10, s10, 1
	s_addc_u32 s11, s11, 0
	v_cmp_eq_u32_e32 vcc_lo, s10, v0
	global_load_ubyte v6, v[18:19], off
	v_mov_b32_e32 v19, s14
	s_waitcnt vmcnt(0)
	v_and_b32_e32 v18, 0xffff, v6
	v_lshlrev_b64 v[18:19], s4, v[18:19]
	s_add_u32 s4, s4, 8
	s_addc_u32 s5, s5, 0
	s_or_b32 s16, vcc_lo, s16
	v_or_b32_e32 v15, v19, v15
	v_or_b32_e32 v14, v18, v14
	s_andn2_b32 exec_lo, exec_lo, s16
	s_cbranch_execnz .LBB0_14
; %bb.15:                               ;   in Loop: Header=BB0_3 Depth=1
	s_or_b32 exec_lo, exec_lo, s16
.LBB0_16:                               ;   in Loop: Header=BB0_3 Depth=1
	s_or_b32 exec_lo, exec_lo, s13
	v_mov_b32_e32 v19, v17
	v_mov_b32_e32 v18, v16
                                        ; implicit-def: $vgpr0
.LBB0_17:                               ;   in Loop: Header=BB0_3 Depth=1
	s_or_saveexec_b32 s4, s12
	v_mov_b32_e32 v6, 0
	s_xor_b32 exec_lo, exec_lo, s4
	s_cbranch_execz .LBB0_19
; %bb.18:                               ;   in Loop: Header=BB0_3 Depth=1
	global_load_dwordx2 v[14:15], v[16:17], off
	v_add_nc_u32_e32 v6, -8, v0
.LBB0_19:                               ;   in Loop: Header=BB0_3 Depth=1
	s_or_b32 exec_lo, exec_lo, s4
	v_add_co_u32 v20, s4, v18, 8
	v_add_co_ci_u32_e64 v21, null, 0, v19, s4
	s_mov_b32 s4, exec_lo
	v_cmpx_gt_u32_e32 8, v6
	s_xor_b32 s12, exec_lo, s4
	s_cbranch_execz .LBB0_25
; %bb.20:                               ;   in Loop: Header=BB0_3 Depth=1
	v_mov_b32_e32 v16, 0
	v_mov_b32_e32 v17, 0
	s_mov_b32 s13, exec_lo
	v_cmpx_ne_u32_e32 0, v6
	s_cbranch_execz .LBB0_24
; %bb.21:                               ;   in Loop: Header=BB0_3 Depth=1
	v_mov_b32_e32 v16, 0
	v_mov_b32_e32 v17, 0
	s_mov_b64 s[4:5], 0
	s_mov_b32 s16, 0
	s_mov_b64 s[10:11], 0
	.p2align	6
.LBB0_22:                               ;   Parent Loop BB0_3 Depth=1
                                        ; =>  This Inner Loop Header: Depth=2
	v_add_co_u32 v20, vcc_lo, v18, s10
	v_add_co_ci_u32_e64 v21, null, s11, v19, vcc_lo
	s_add_u32 s10, s10, 1
	s_addc_u32 s11, s11, 0
	v_cmp_eq_u32_e32 vcc_lo, s10, v6
	global_load_ubyte v0, v[20:21], off
	v_mov_b32_e32 v21, s14
	s_waitcnt vmcnt(0)
	v_and_b32_e32 v20, 0xffff, v0
	v_lshlrev_b64 v[20:21], s4, v[20:21]
	s_add_u32 s4, s4, 8
	s_addc_u32 s5, s5, 0
	s_or_b32 s16, vcc_lo, s16
	v_or_b32_e32 v17, v21, v17
	v_or_b32_e32 v16, v20, v16
	s_andn2_b32 exec_lo, exec_lo, s16
	s_cbranch_execnz .LBB0_22
; %bb.23:                               ;   in Loop: Header=BB0_3 Depth=1
	s_or_b32 exec_lo, exec_lo, s16
.LBB0_24:                               ;   in Loop: Header=BB0_3 Depth=1
	s_or_b32 exec_lo, exec_lo, s13
	v_mov_b32_e32 v21, v19
	v_mov_b32_e32 v20, v18
                                        ; implicit-def: $vgpr6
.LBB0_25:                               ;   in Loop: Header=BB0_3 Depth=1
	s_or_saveexec_b32 s4, s12
	v_mov_b32_e32 v0, 0
	s_xor_b32 exec_lo, exec_lo, s4
	s_cbranch_execz .LBB0_27
; %bb.26:                               ;   in Loop: Header=BB0_3 Depth=1
	global_load_dwordx2 v[16:17], v[18:19], off
	v_add_nc_u32_e32 v0, -8, v6
.LBB0_27:                               ;   in Loop: Header=BB0_3 Depth=1
	s_or_b32 exec_lo, exec_lo, s4
	v_add_co_u32 v22, s4, v20, 8
	v_add_co_ci_u32_e64 v23, null, 0, v21, s4
                                        ; implicit-def: $vgpr18_vgpr19
	s_mov_b32 s4, exec_lo
	v_cmpx_gt_u32_e32 8, v0
	s_xor_b32 s12, exec_lo, s4
	s_cbranch_execz .LBB0_33
; %bb.28:                               ;   in Loop: Header=BB0_3 Depth=1
	v_mov_b32_e32 v18, 0
	v_mov_b32_e32 v19, 0
	s_mov_b32 s13, exec_lo
	v_cmpx_ne_u32_e32 0, v0
	s_cbranch_execz .LBB0_32
; %bb.29:                               ;   in Loop: Header=BB0_3 Depth=1
	v_mov_b32_e32 v18, 0
	v_mov_b32_e32 v19, 0
	s_mov_b64 s[4:5], 0
	s_mov_b32 s16, 0
	s_mov_b64 s[10:11], 0
	.p2align	6
.LBB0_30:                               ;   Parent Loop BB0_3 Depth=1
                                        ; =>  This Inner Loop Header: Depth=2
	v_add_co_u32 v22, vcc_lo, v20, s10
	v_add_co_ci_u32_e64 v23, null, s11, v21, vcc_lo
	s_add_u32 s10, s10, 1
	s_addc_u32 s11, s11, 0
	v_cmp_eq_u32_e32 vcc_lo, s10, v0
	global_load_ubyte v6, v[22:23], off
	v_mov_b32_e32 v23, s14
	s_waitcnt vmcnt(0)
	v_and_b32_e32 v22, 0xffff, v6
	v_lshlrev_b64 v[22:23], s4, v[22:23]
	s_add_u32 s4, s4, 8
	s_addc_u32 s5, s5, 0
	s_or_b32 s16, vcc_lo, s16
	v_or_b32_e32 v19, v23, v19
	v_or_b32_e32 v18, v22, v18
	s_andn2_b32 exec_lo, exec_lo, s16
	s_cbranch_execnz .LBB0_30
; %bb.31:                               ;   in Loop: Header=BB0_3 Depth=1
	s_or_b32 exec_lo, exec_lo, s16
.LBB0_32:                               ;   in Loop: Header=BB0_3 Depth=1
	s_or_b32 exec_lo, exec_lo, s13
	v_mov_b32_e32 v23, v21
	v_mov_b32_e32 v22, v20
                                        ; implicit-def: $vgpr0
.LBB0_33:                               ;   in Loop: Header=BB0_3 Depth=1
	s_or_saveexec_b32 s4, s12
	v_mov_b32_e32 v6, 0
	s_xor_b32 exec_lo, exec_lo, s4
	s_cbranch_execz .LBB0_35
; %bb.34:                               ;   in Loop: Header=BB0_3 Depth=1
	global_load_dwordx2 v[18:19], v[20:21], off
	v_add_nc_u32_e32 v6, -8, v0
.LBB0_35:                               ;   in Loop: Header=BB0_3 Depth=1
	s_or_b32 exec_lo, exec_lo, s4
	v_add_co_u32 v24, s4, v22, 8
	v_add_co_ci_u32_e64 v25, null, 0, v23, s4
	s_mov_b32 s4, exec_lo
	v_cmpx_gt_u32_e32 8, v6
	s_xor_b32 s12, exec_lo, s4
	s_cbranch_execz .LBB0_41
; %bb.36:                               ;   in Loop: Header=BB0_3 Depth=1
	v_mov_b32_e32 v20, 0
	v_mov_b32_e32 v21, 0
	s_mov_b32 s13, exec_lo
	v_cmpx_ne_u32_e32 0, v6
	s_cbranch_execz .LBB0_40
; %bb.37:                               ;   in Loop: Header=BB0_3 Depth=1
	v_mov_b32_e32 v20, 0
	v_mov_b32_e32 v21, 0
	s_mov_b64 s[4:5], 0
	s_mov_b32 s16, 0
	s_mov_b64 s[10:11], 0
	.p2align	6
.LBB0_38:                               ;   Parent Loop BB0_3 Depth=1
                                        ; =>  This Inner Loop Header: Depth=2
	v_add_co_u32 v24, vcc_lo, v22, s10
	v_add_co_ci_u32_e64 v25, null, s11, v23, vcc_lo
	s_add_u32 s10, s10, 1
	s_addc_u32 s11, s11, 0
	v_cmp_eq_u32_e32 vcc_lo, s10, v6
	global_load_ubyte v0, v[24:25], off
	v_mov_b32_e32 v25, s14
	s_waitcnt vmcnt(0)
	v_and_b32_e32 v24, 0xffff, v0
	v_lshlrev_b64 v[24:25], s4, v[24:25]
	s_add_u32 s4, s4, 8
	s_addc_u32 s5, s5, 0
	s_or_b32 s16, vcc_lo, s16
	v_or_b32_e32 v21, v25, v21
	v_or_b32_e32 v20, v24, v20
	s_andn2_b32 exec_lo, exec_lo, s16
	s_cbranch_execnz .LBB0_38
; %bb.39:                               ;   in Loop: Header=BB0_3 Depth=1
	s_or_b32 exec_lo, exec_lo, s16
.LBB0_40:                               ;   in Loop: Header=BB0_3 Depth=1
	s_or_b32 exec_lo, exec_lo, s13
	v_mov_b32_e32 v25, v23
	v_mov_b32_e32 v24, v22
                                        ; implicit-def: $vgpr6
.LBB0_41:                               ;   in Loop: Header=BB0_3 Depth=1
	s_or_saveexec_b32 s4, s12
	v_mov_b32_e32 v0, 0
	s_xor_b32 exec_lo, exec_lo, s4
	s_cbranch_execz .LBB0_43
; %bb.42:                               ;   in Loop: Header=BB0_3 Depth=1
	global_load_dwordx2 v[20:21], v[22:23], off
	v_add_nc_u32_e32 v0, -8, v6
.LBB0_43:                               ;   in Loop: Header=BB0_3 Depth=1
	s_or_b32 exec_lo, exec_lo, s4
	v_add_co_u32 v26, s4, v24, 8
	v_add_co_ci_u32_e64 v27, null, 0, v25, s4
                                        ; implicit-def: $vgpr22_vgpr23
	s_mov_b32 s4, exec_lo
	v_cmpx_gt_u32_e32 8, v0
	s_xor_b32 s12, exec_lo, s4
	s_cbranch_execz .LBB0_49
; %bb.44:                               ;   in Loop: Header=BB0_3 Depth=1
	v_mov_b32_e32 v22, 0
	v_mov_b32_e32 v23, 0
	s_mov_b32 s13, exec_lo
	v_cmpx_ne_u32_e32 0, v0
	s_cbranch_execz .LBB0_48
; %bb.45:                               ;   in Loop: Header=BB0_3 Depth=1
	v_mov_b32_e32 v22, 0
	v_mov_b32_e32 v23, 0
	s_mov_b64 s[4:5], 0
	s_mov_b32 s16, 0
	s_mov_b64 s[10:11], 0
	.p2align	6
.LBB0_46:                               ;   Parent Loop BB0_3 Depth=1
                                        ; =>  This Inner Loop Header: Depth=2
	v_add_co_u32 v26, vcc_lo, v24, s10
	v_add_co_ci_u32_e64 v27, null, s11, v25, vcc_lo
	s_add_u32 s10, s10, 1
	s_addc_u32 s11, s11, 0
	v_cmp_eq_u32_e32 vcc_lo, s10, v0
	global_load_ubyte v6, v[26:27], off
	v_mov_b32_e32 v27, s14
	s_waitcnt vmcnt(0)
	v_and_b32_e32 v26, 0xffff, v6
	v_lshlrev_b64 v[26:27], s4, v[26:27]
	s_add_u32 s4, s4, 8
	s_addc_u32 s5, s5, 0
	s_or_b32 s16, vcc_lo, s16
	v_or_b32_e32 v23, v27, v23
	v_or_b32_e32 v22, v26, v22
	s_andn2_b32 exec_lo, exec_lo, s16
	s_cbranch_execnz .LBB0_46
; %bb.47:                               ;   in Loop: Header=BB0_3 Depth=1
	s_or_b32 exec_lo, exec_lo, s16
.LBB0_48:                               ;   in Loop: Header=BB0_3 Depth=1
	s_or_b32 exec_lo, exec_lo, s13
	v_mov_b32_e32 v27, v25
	v_mov_b32_e32 v26, v24
                                        ; implicit-def: $vgpr0
.LBB0_49:                               ;   in Loop: Header=BB0_3 Depth=1
	s_or_saveexec_b32 s4, s12
	v_mov_b32_e32 v6, 0
	s_xor_b32 exec_lo, exec_lo, s4
	s_cbranch_execz .LBB0_51
; %bb.50:                               ;   in Loop: Header=BB0_3 Depth=1
	global_load_dwordx2 v[22:23], v[24:25], off
	v_add_nc_u32_e32 v6, -8, v0
.LBB0_51:                               ;   in Loop: Header=BB0_3 Depth=1
	s_or_b32 exec_lo, exec_lo, s4
	s_mov_b32 s4, exec_lo
	v_cmpx_gt_u32_e32 8, v6
	s_xor_b32 s10, exec_lo, s4
	s_cbranch_execz .LBB0_57
; %bb.52:                               ;   in Loop: Header=BB0_3 Depth=1
	v_mov_b32_e32 v24, 0
	v_mov_b32_e32 v25, 0
	s_mov_b32 s11, exec_lo
	v_cmpx_ne_u32_e32 0, v6
	s_cbranch_execz .LBB0_56
; %bb.53:                               ;   in Loop: Header=BB0_3 Depth=1
	v_mov_b32_e32 v24, 0
	v_mov_b32_e32 v25, 0
	s_mov_b64 s[4:5], 0
	s_mov_b32 s12, 0
	.p2align	6
.LBB0_54:                               ;   Parent Loop BB0_3 Depth=1
                                        ; =>  This Inner Loop Header: Depth=2
	global_load_ubyte v0, v[26:27], off
	v_mov_b32_e32 v29, s14
	v_add_nc_u32_e32 v6, -1, v6
	v_add_co_u32 v26, vcc_lo, v26, 1
	v_add_co_ci_u32_e64 v27, null, 0, v27, vcc_lo
	v_cmp_eq_u32_e32 vcc_lo, 0, v6
	s_waitcnt vmcnt(0)
	v_and_b32_e32 v28, 0xffff, v0
	v_lshlrev_b64 v[28:29], s4, v[28:29]
	s_add_u32 s4, s4, 8
	s_addc_u32 s5, s5, 0
	s_or_b32 s12, vcc_lo, s12
	v_or_b32_e32 v25, v29, v25
	v_or_b32_e32 v24, v28, v24
	s_andn2_b32 exec_lo, exec_lo, s12
	s_cbranch_execnz .LBB0_54
; %bb.55:                               ;   in Loop: Header=BB0_3 Depth=1
	s_or_b32 exec_lo, exec_lo, s12
.LBB0_56:                               ;   in Loop: Header=BB0_3 Depth=1
	s_or_b32 exec_lo, exec_lo, s11
                                        ; implicit-def: $vgpr26_vgpr27
.LBB0_57:                               ;   in Loop: Header=BB0_3 Depth=1
	s_andn2_saveexec_b32 s4, s10
	s_cbranch_execz .LBB0_59
; %bb.58:                               ;   in Loop: Header=BB0_3 Depth=1
	global_load_dwordx2 v[24:25], v[26:27], off
.LBB0_59:                               ;   in Loop: Header=BB0_3 Depth=1
	s_or_b32 exec_lo, exec_lo, s4
	v_readfirstlane_b32 s4, v35
	v_mov_b32_e32 v32, 0
	v_mov_b32_e32 v33, 0
	v_cmp_eq_u32_e64 s4, s4, v35
	s_and_saveexec_b32 s5, s4
	s_cbranch_execz .LBB0_65
; %bb.60:                               ;   in Loop: Header=BB0_3 Depth=1
	s_waitcnt lgkmcnt(0)
	global_load_dwordx2 v[28:29], v7, s[6:7] offset:24 glc dlc
	s_waitcnt vmcnt(0)
	buffer_gl1_inv
	buffer_gl0_inv
	s_clause 0x1
	global_load_dwordx2 v[26:27], v7, s[6:7] offset:40
	global_load_dwordx2 v[32:33], v7, s[6:7]
	s_mov_b32 s10, exec_lo
	s_waitcnt vmcnt(1)
	v_and_b32_e32 v0, v27, v29
	v_and_b32_e32 v6, v26, v28
	v_mul_lo_u32 v0, v0, 24
	v_mul_hi_u32 v26, v6, 24
	v_mul_lo_u32 v6, v6, 24
	v_add_nc_u32_e32 v0, v26, v0
	s_waitcnt vmcnt(0)
	v_add_co_u32 v26, vcc_lo, v32, v6
	v_add_co_ci_u32_e64 v27, null, v33, v0, vcc_lo
	global_load_dwordx2 v[26:27], v[26:27], off glc dlc
	s_waitcnt vmcnt(0)
	global_atomic_cmpswap_x2 v[32:33], v7, v[26:29], s[6:7] offset:24 glc
	s_waitcnt vmcnt(0)
	buffer_gl1_inv
	buffer_gl0_inv
	v_cmpx_ne_u64_e64 v[32:33], v[28:29]
	s_cbranch_execz .LBB0_64
; %bb.61:                               ;   in Loop: Header=BB0_3 Depth=1
	s_mov_b32 s11, 0
	.p2align	6
.LBB0_62:                               ;   Parent Loop BB0_3 Depth=1
                                        ; =>  This Inner Loop Header: Depth=2
	s_sleep 1
	s_clause 0x1
	global_load_dwordx2 v[26:27], v7, s[6:7] offset:40
	global_load_dwordx2 v[37:38], v7, s[6:7]
	v_mov_b32_e32 v28, v32
	v_mov_b32_e32 v29, v33
	s_waitcnt vmcnt(1)
	v_and_b32_e32 v0, v26, v28
	v_and_b32_e32 v6, v27, v29
	s_waitcnt vmcnt(0)
	v_mad_u64_u32 v[32:33], null, v0, 24, v[37:38]
	v_mov_b32_e32 v0, v33
	v_mad_u64_u32 v[26:27], null, v6, 24, v[0:1]
	v_mov_b32_e32 v33, v26
	global_load_dwordx2 v[26:27], v[32:33], off glc dlc
	s_waitcnt vmcnt(0)
	global_atomic_cmpswap_x2 v[32:33], v7, v[26:29], s[6:7] offset:24 glc
	s_waitcnt vmcnt(0)
	buffer_gl1_inv
	buffer_gl0_inv
	v_cmp_eq_u64_e32 vcc_lo, v[32:33], v[28:29]
	s_or_b32 s11, vcc_lo, s11
	s_andn2_b32 exec_lo, exec_lo, s11
	s_cbranch_execnz .LBB0_62
; %bb.63:                               ;   in Loop: Header=BB0_3 Depth=1
	s_or_b32 exec_lo, exec_lo, s11
.LBB0_64:                               ;   in Loop: Header=BB0_3 Depth=1
	s_or_b32 exec_lo, exec_lo, s10
.LBB0_65:                               ;   in Loop: Header=BB0_3 Depth=1
	s_or_b32 exec_lo, exec_lo, s5
	s_waitcnt lgkmcnt(0)
	s_clause 0x1
	global_load_dwordx2 v[37:38], v7, s[6:7] offset:40
	global_load_dwordx4 v[26:29], v7, s[6:7]
	v_readfirstlane_b32 s11, v33
	v_readfirstlane_b32 s10, v32
	s_mov_b32 s5, exec_lo
	s_waitcnt vmcnt(1)
	v_readfirstlane_b32 s12, v37
	v_readfirstlane_b32 s13, v38
	s_and_b64 s[12:13], s[12:13], s[10:11]
	s_mul_i32 s16, s13, 24
	s_mul_hi_u32 s17, s12, 24
	s_mul_i32 s18, s12, 24
	s_add_i32 s17, s17, s16
	s_waitcnt vmcnt(0)
	v_add_co_u32 v32, vcc_lo, v26, s18
	v_add_co_ci_u32_e64 v33, null, s17, v27, vcc_lo
	s_and_saveexec_b32 s16, s4
	s_cbranch_execz .LBB0_67
; %bb.66:                               ;   in Loop: Header=BB0_3 Depth=1
	v_mov_b32_e32 v6, s5
	global_store_dwordx4 v[32:33], v[6:9], off offset:8
.LBB0_67:                               ;   in Loop: Header=BB0_3 Depth=1
	s_or_b32 exec_lo, exec_lo, s16
	v_cmp_gt_u64_e32 vcc_lo, 57, v[4:5]
	s_lshl_b64 s[12:13], s[12:13], 12
	v_and_b32_e32 v10, 0xffffff1f, v10
	v_lshl_add_u32 v37, v30, 2, 28
	v_cndmask_b32_e32 v6, 0, v36, vcc_lo
	v_add_co_u32 v0, vcc_lo, v28, s12
	v_add_co_ci_u32_e64 v28, null, s13, v29, vcc_lo
	v_or_b32_e32 v6, v10, v6
	v_lshlrev_b32_e32 v29, 6, v35
	v_readfirstlane_b32 s12, v0
	v_readfirstlane_b32 s13, v28
	v_and_or_b32 v10, 0x1e0, v37, v6
	global_store_dwordx4 v29, v[14:17], s[12:13] offset:16
	global_store_dwordx4 v29, v[10:13], s[12:13]
	global_store_dwordx4 v29, v[18:21], s[12:13] offset:32
	global_store_dwordx4 v29, v[22:25], s[12:13] offset:48
	s_and_saveexec_b32 s5, s4
	s_cbranch_execz .LBB0_75
; %bb.68:                               ;   in Loop: Header=BB0_3 Depth=1
	s_clause 0x1
	global_load_dwordx2 v[18:19], v7, s[6:7] offset:32 glc dlc
	global_load_dwordx2 v[10:11], v7, s[6:7] offset:40
	v_mov_b32_e32 v16, s10
	v_mov_b32_e32 v17, s11
	s_waitcnt vmcnt(0)
	v_readfirstlane_b32 s12, v10
	v_readfirstlane_b32 s13, v11
	s_and_b64 s[12:13], s[12:13], s[10:11]
	s_mul_i32 s13, s13, 24
	s_mul_hi_u32 s16, s12, 24
	s_mul_i32 s12, s12, 24
	s_add_i32 s16, s16, s13
	v_add_co_u32 v14, vcc_lo, v26, s12
	v_add_co_ci_u32_e64 v15, null, s16, v27, vcc_lo
	s_mov_b32 s12, exec_lo
	global_store_dwordx2 v[14:15], v[18:19], off
	s_waitcnt_vscnt null, 0x0
	global_atomic_cmpswap_x2 v[12:13], v7, v[16:19], s[6:7] offset:32 glc
	s_waitcnt vmcnt(0)
	v_cmpx_ne_u64_e64 v[12:13], v[18:19]
	s_cbranch_execz .LBB0_71
; %bb.69:                               ;   in Loop: Header=BB0_3 Depth=1
	s_mov_b32 s13, 0
.LBB0_70:                               ;   Parent Loop BB0_3 Depth=1
                                        ; =>  This Inner Loop Header: Depth=2
	v_mov_b32_e32 v10, s10
	v_mov_b32_e32 v11, s11
	s_sleep 1
	global_store_dwordx2 v[14:15], v[12:13], off
	s_waitcnt_vscnt null, 0x0
	global_atomic_cmpswap_x2 v[10:11], v7, v[10:13], s[6:7] offset:32 glc
	s_waitcnt vmcnt(0)
	v_cmp_eq_u64_e32 vcc_lo, v[10:11], v[12:13]
	v_mov_b32_e32 v13, v11
	v_mov_b32_e32 v12, v10
	s_or_b32 s13, vcc_lo, s13
	s_andn2_b32 exec_lo, exec_lo, s13
	s_cbranch_execnz .LBB0_70
.LBB0_71:                               ;   in Loop: Header=BB0_3 Depth=1
	s_or_b32 exec_lo, exec_lo, s12
	global_load_dwordx2 v[10:11], v7, s[6:7] offset:16
	s_mov_b32 s13, exec_lo
	s_mov_b32 s12, exec_lo
	v_mbcnt_lo_u32_b32 v6, s13, 0
	v_cmpx_eq_u32_e32 0, v6
	s_cbranch_execz .LBB0_73
; %bb.72:                               ;   in Loop: Header=BB0_3 Depth=1
	s_bcnt1_i32_b32 s13, s13
	v_mov_b32_e32 v6, s13
	s_waitcnt vmcnt(0)
	global_atomic_add_x2 v[10:11], v[6:7], off offset:8
.LBB0_73:                               ;   in Loop: Header=BB0_3 Depth=1
	s_or_b32 exec_lo, exec_lo, s12
	s_waitcnt vmcnt(0)
	global_load_dwordx2 v[12:13], v[10:11], off offset:16
	s_waitcnt vmcnt(0)
	v_cmp_eq_u64_e32 vcc_lo, 0, v[12:13]
	s_cbranch_vccnz .LBB0_75
; %bb.74:                               ;   in Loop: Header=BB0_3 Depth=1
	global_load_dword v6, v[10:11], off offset:24
	s_waitcnt vmcnt(0)
	v_readfirstlane_b32 s12, v6
	s_waitcnt_vscnt null, 0x0
	global_store_dwordx2 v[12:13], v[6:7], off
	s_and_b32 m0, s12, 0x7fffff
	s_sendmsg sendmsg(MSG_INTERRUPT)
.LBB0_75:                               ;   in Loop: Header=BB0_3 Depth=1
	s_or_b32 exec_lo, exec_lo, s5
	v_add_co_u32 v10, vcc_lo, v0, v29
	v_add_co_ci_u32_e64 v11, null, 0, v28, vcc_lo
	s_branch .LBB0_79
	.p2align	6
.LBB0_76:                               ;   in Loop: Header=BB0_79 Depth=2
	s_or_b32 exec_lo, exec_lo, s5
	v_readfirstlane_b32 s5, v0
	s_cmp_eq_u32 s5, 0
	s_cbranch_scc1 .LBB0_78
; %bb.77:                               ;   in Loop: Header=BB0_79 Depth=2
	s_sleep 1
	s_cbranch_execnz .LBB0_79
	s_branch .LBB0_81
	.p2align	6
.LBB0_78:                               ;   in Loop: Header=BB0_3 Depth=1
	s_branch .LBB0_81
.LBB0_79:                               ;   Parent Loop BB0_3 Depth=1
                                        ; =>  This Inner Loop Header: Depth=2
	v_mov_b32_e32 v0, 1
	s_and_saveexec_b32 s5, s4
	s_cbranch_execz .LBB0_76
; %bb.80:                               ;   in Loop: Header=BB0_79 Depth=2
	global_load_dword v0, v[32:33], off offset:20 glc dlc
	s_waitcnt vmcnt(0)
	buffer_gl1_inv
	buffer_gl0_inv
	v_and_b32_e32 v0, 1, v0
	s_branch .LBB0_76
.LBB0_81:                               ;   in Loop: Header=BB0_3 Depth=1
	global_load_dwordx4 v[10:13], v[10:11], off
	s_and_saveexec_b32 s12, s4
	s_cbranch_execz .LBB0_2
; %bb.82:                               ;   in Loop: Header=BB0_3 Depth=1
	s_clause 0x2
	global_load_dwordx2 v[12:13], v7, s[6:7] offset:40
	global_load_dwordx2 v[20:21], v7, s[6:7] offset:24 glc dlc
	global_load_dwordx2 v[14:15], v7, s[6:7]
	s_waitcnt vmcnt(2)
	v_readfirstlane_b32 s16, v12
	v_readfirstlane_b32 s17, v13
	s_add_u32 s13, s16, 1
	s_addc_u32 s18, s17, 0
	s_add_u32 s4, s13, s10
	s_addc_u32 s5, s18, s11
	s_cmp_eq_u64 s[4:5], 0
	s_cselect_b32 s5, s18, s5
	s_cselect_b32 s4, s13, s4
	v_mov_b32_e32 v19, s5
	s_and_b64 s[10:11], s[4:5], s[16:17]
	v_mov_b32_e32 v18, s4
	s_mul_i32 s11, s11, 24
	s_mul_hi_u32 s13, s10, 24
	s_mul_i32 s10, s10, 24
	s_add_i32 s13, s13, s11
	s_waitcnt vmcnt(0)
	v_add_co_u32 v16, vcc_lo, v14, s10
	v_add_co_ci_u32_e64 v17, null, s13, v15, vcc_lo
	global_store_dwordx2 v[16:17], v[20:21], off
	s_waitcnt_vscnt null, 0x0
	global_atomic_cmpswap_x2 v[14:15], v7, v[18:21], s[6:7] offset:24 glc
	s_waitcnt vmcnt(0)
	v_cmp_ne_u64_e32 vcc_lo, v[14:15], v[20:21]
	s_and_b32 exec_lo, exec_lo, vcc_lo
	s_cbranch_execz .LBB0_2
; %bb.83:                               ;   in Loop: Header=BB0_3 Depth=1
	s_mov_b32 s10, 0
.LBB0_84:                               ;   Parent Loop BB0_3 Depth=1
                                        ; =>  This Inner Loop Header: Depth=2
	v_mov_b32_e32 v12, s4
	v_mov_b32_e32 v13, s5
	s_sleep 1
	global_store_dwordx2 v[16:17], v[14:15], off
	s_waitcnt_vscnt null, 0x0
	global_atomic_cmpswap_x2 v[12:13], v7, v[12:15], s[6:7] offset:24 glc
	s_waitcnt vmcnt(0)
	v_cmp_eq_u64_e32 vcc_lo, v[12:13], v[14:15]
	v_mov_b32_e32 v15, v13
	v_mov_b32_e32 v14, v12
	s_or_b32 s10, vcc_lo, s10
	s_andn2_b32 exec_lo, exec_lo, s10
	s_cbranch_execnz .LBB0_84
	s_branch .LBB0_2
.LBB0_85:
	s_or_b32 exec_lo, exec_lo, s15
	s_branch .LBB0_114
.LBB0_86:
	s_load_dwordx2 s[6:7], s[8:9], 0x50
	v_readfirstlane_b32 s4, v35
	v_mov_b32_e32 v8, 0
	v_mov_b32_e32 v9, 0
	v_cmp_eq_u32_e64 s4, s4, v35
	s_and_saveexec_b32 s5, s4
	s_cbranch_execz .LBB0_92
; %bb.87:
	v_mov_b32_e32 v0, 0
	s_mov_b32 s8, exec_lo
	s_waitcnt lgkmcnt(0)
	global_load_dwordx2 v[4:5], v0, s[6:7] offset:24 glc dlc
	s_waitcnt vmcnt(0)
	buffer_gl1_inv
	buffer_gl0_inv
	s_clause 0x1
	global_load_dwordx2 v[2:3], v0, s[6:7] offset:40
	global_load_dwordx2 v[6:7], v0, s[6:7]
	s_waitcnt vmcnt(1)
	v_and_b32_e32 v3, v3, v5
	v_and_b32_e32 v2, v2, v4
	v_mul_lo_u32 v3, v3, 24
	v_mul_hi_u32 v8, v2, 24
	v_mul_lo_u32 v2, v2, 24
	v_add_nc_u32_e32 v3, v8, v3
	s_waitcnt vmcnt(0)
	v_add_co_u32 v2, vcc_lo, v6, v2
	v_add_co_ci_u32_e64 v3, null, v7, v3, vcc_lo
	global_load_dwordx2 v[2:3], v[2:3], off glc dlc
	s_waitcnt vmcnt(0)
	global_atomic_cmpswap_x2 v[8:9], v0, v[2:5], s[6:7] offset:24 glc
	s_waitcnt vmcnt(0)
	buffer_gl1_inv
	buffer_gl0_inv
	v_cmpx_ne_u64_e64 v[8:9], v[4:5]
	s_cbranch_execz .LBB0_91
; %bb.88:
	s_mov_b32 s9, 0
	.p2align	6
.LBB0_89:                               ; =>This Inner Loop Header: Depth=1
	s_sleep 1
	s_clause 0x1
	global_load_dwordx2 v[2:3], v0, s[6:7] offset:40
	global_load_dwordx2 v[6:7], v0, s[6:7]
	v_mov_b32_e32 v4, v8
	v_mov_b32_e32 v5, v9
	s_waitcnt vmcnt(1)
	v_and_b32_e32 v2, v2, v4
	v_and_b32_e32 v3, v3, v5
	s_waitcnt vmcnt(0)
	v_mad_u64_u32 v[6:7], null, v2, 24, v[6:7]
	v_mov_b32_e32 v2, v7
	v_mad_u64_u32 v[2:3], null, v3, 24, v[2:3]
	v_mov_b32_e32 v7, v2
	global_load_dwordx2 v[2:3], v[6:7], off glc dlc
	s_waitcnt vmcnt(0)
	global_atomic_cmpswap_x2 v[8:9], v0, v[2:5], s[6:7] offset:24 glc
	s_waitcnt vmcnt(0)
	buffer_gl1_inv
	buffer_gl0_inv
	v_cmp_eq_u64_e32 vcc_lo, v[8:9], v[4:5]
	s_or_b32 s9, vcc_lo, s9
	s_andn2_b32 exec_lo, exec_lo, s9
	s_cbranch_execnz .LBB0_89
; %bb.90:
	s_or_b32 exec_lo, exec_lo, s9
.LBB0_91:
	s_or_b32 exec_lo, exec_lo, s8
.LBB0_92:
	s_or_b32 exec_lo, exec_lo, s5
	v_mov_b32_e32 v2, 0
	v_readfirstlane_b32 s9, v9
	v_readfirstlane_b32 s8, v8
	s_mov_b32 s5, exec_lo
	s_waitcnt lgkmcnt(0)
	s_clause 0x1
	global_load_dwordx2 v[10:11], v2, s[6:7] offset:40
	global_load_dwordx4 v[4:7], v2, s[6:7]
	s_waitcnt vmcnt(1)
	v_readfirstlane_b32 s10, v10
	v_readfirstlane_b32 s11, v11
	s_and_b64 s[10:11], s[10:11], s[8:9]
	s_mul_i32 s12, s11, 24
	s_mul_hi_u32 s13, s10, 24
	s_mul_i32 s14, s10, 24
	s_add_i32 s13, s13, s12
	s_waitcnt vmcnt(0)
	v_add_co_u32 v8, vcc_lo, v4, s14
	v_add_co_ci_u32_e64 v9, null, s13, v5, vcc_lo
	s_and_saveexec_b32 s12, s4
	s_cbranch_execz .LBB0_94
; %bb.93:
	v_mov_b32_e32 v10, s5
	v_mov_b32_e32 v11, v2
	v_mov_b32_e32 v12, 2
	v_mov_b32_e32 v13, 1
	global_store_dwordx4 v[8:9], v[10:13], off offset:8
.LBB0_94:
	s_or_b32 exec_lo, exec_lo, s12
	s_lshl_b64 s[10:11], s[10:11], 12
	s_mov_b32 s12, 0
	v_add_co_u32 v6, vcc_lo, v6, s10
	v_add_co_ci_u32_e64 v7, null, s11, v7, vcc_lo
	s_mov_b32 s13, s12
	s_mov_b32 s14, s12
	;; [unrolled: 1-line block ×3, first 2 shown]
	v_and_or_b32 v0, 0xffffff1f, v34, 32
	v_lshlrev_b32_e32 v14, 6, v35
	v_mov_b32_e32 v3, v2
	v_readfirstlane_b32 s10, v6
	v_readfirstlane_b32 s11, v7
	v_mov_b32_e32 v10, s12
	v_mov_b32_e32 v11, s13
	;; [unrolled: 1-line block ×4, first 2 shown]
	global_store_dwordx4 v14, v[0:3], s[10:11]
	global_store_dwordx4 v14, v[10:13], s[10:11] offset:16
	global_store_dwordx4 v14, v[10:13], s[10:11] offset:32
	;; [unrolled: 1-line block ×3, first 2 shown]
	s_and_saveexec_b32 s5, s4
	s_cbranch_execz .LBB0_102
; %bb.95:
	v_mov_b32_e32 v6, 0
	v_mov_b32_e32 v10, s8
	;; [unrolled: 1-line block ×3, first 2 shown]
	s_mov_b32 s10, exec_lo
	s_clause 0x1
	global_load_dwordx2 v[12:13], v6, s[6:7] offset:32 glc dlc
	global_load_dwordx2 v[0:1], v6, s[6:7] offset:40
	s_waitcnt vmcnt(0)
	v_and_b32_e32 v1, s9, v1
	v_and_b32_e32 v0, s8, v0
	v_mul_lo_u32 v1, v1, 24
	v_mul_hi_u32 v2, v0, 24
	v_mul_lo_u32 v0, v0, 24
	v_add_nc_u32_e32 v1, v2, v1
	v_add_co_u32 v4, vcc_lo, v4, v0
	v_add_co_ci_u32_e64 v5, null, v5, v1, vcc_lo
	global_store_dwordx2 v[4:5], v[12:13], off
	s_waitcnt_vscnt null, 0x0
	global_atomic_cmpswap_x2 v[2:3], v6, v[10:13], s[6:7] offset:32 glc
	s_waitcnt vmcnt(0)
	v_cmpx_ne_u64_e64 v[2:3], v[12:13]
	s_cbranch_execz .LBB0_98
; %bb.96:
	s_mov_b32 s11, 0
.LBB0_97:                               ; =>This Inner Loop Header: Depth=1
	v_mov_b32_e32 v0, s8
	v_mov_b32_e32 v1, s9
	s_sleep 1
	global_store_dwordx2 v[4:5], v[2:3], off
	s_waitcnt_vscnt null, 0x0
	global_atomic_cmpswap_x2 v[0:1], v6, v[0:3], s[6:7] offset:32 glc
	s_waitcnt vmcnt(0)
	v_cmp_eq_u64_e32 vcc_lo, v[0:1], v[2:3]
	v_mov_b32_e32 v3, v1
	v_mov_b32_e32 v2, v0
	s_or_b32 s11, vcc_lo, s11
	s_andn2_b32 exec_lo, exec_lo, s11
	s_cbranch_execnz .LBB0_97
.LBB0_98:
	s_or_b32 exec_lo, exec_lo, s10
	v_mov_b32_e32 v3, 0
	s_mov_b32 s11, exec_lo
	s_mov_b32 s10, exec_lo
	v_mbcnt_lo_u32_b32 v2, s11, 0
	global_load_dwordx2 v[0:1], v3, s[6:7] offset:16
	v_cmpx_eq_u32_e32 0, v2
	s_cbranch_execz .LBB0_100
; %bb.99:
	s_bcnt1_i32_b32 s11, s11
	v_mov_b32_e32 v2, s11
	s_waitcnt vmcnt(0)
	global_atomic_add_x2 v[0:1], v[2:3], off offset:8
.LBB0_100:
	s_or_b32 exec_lo, exec_lo, s10
	s_waitcnt vmcnt(0)
	global_load_dwordx2 v[2:3], v[0:1], off offset:16
	s_waitcnt vmcnt(0)
	v_cmp_eq_u64_e32 vcc_lo, 0, v[2:3]
	s_cbranch_vccnz .LBB0_102
; %bb.101:
	global_load_dword v0, v[0:1], off offset:24
	v_mov_b32_e32 v1, 0
	s_waitcnt vmcnt(0)
	v_readfirstlane_b32 s10, v0
	s_waitcnt_vscnt null, 0x0
	global_store_dwordx2 v[2:3], v[0:1], off
	s_and_b32 m0, s10, 0x7fffff
	s_sendmsg sendmsg(MSG_INTERRUPT)
.LBB0_102:
	s_or_b32 exec_lo, exec_lo, s5
	s_branch .LBB0_106
	.p2align	6
.LBB0_103:                              ;   in Loop: Header=BB0_106 Depth=1
	s_or_b32 exec_lo, exec_lo, s5
	v_readfirstlane_b32 s5, v0
	s_cmp_eq_u32 s5, 0
	s_cbranch_scc1 .LBB0_105
; %bb.104:                              ;   in Loop: Header=BB0_106 Depth=1
	s_sleep 1
	s_cbranch_execnz .LBB0_106
	s_branch .LBB0_108
	.p2align	6
.LBB0_105:
	s_branch .LBB0_108
.LBB0_106:                              ; =>This Inner Loop Header: Depth=1
	v_mov_b32_e32 v0, 1
	s_and_saveexec_b32 s5, s4
	s_cbranch_execz .LBB0_103
; %bb.107:                              ;   in Loop: Header=BB0_106 Depth=1
	global_load_dword v0, v[8:9], off offset:20 glc dlc
	s_waitcnt vmcnt(0)
	buffer_gl1_inv
	buffer_gl0_inv
	v_and_b32_e32 v0, 1, v0
	s_branch .LBB0_103
.LBB0_108:
	s_and_saveexec_b32 s10, s4
	s_cbranch_execz .LBB0_112
; %bb.109:
	v_mov_b32_e32 v6, 0
	s_clause 0x2
	global_load_dwordx2 v[0:1], v6, s[6:7] offset:40
	global_load_dwordx2 v[9:10], v6, s[6:7] offset:24 glc dlc
	global_load_dwordx2 v[2:3], v6, s[6:7]
	s_waitcnt vmcnt(2)
	v_readfirstlane_b32 s12, v0
	v_readfirstlane_b32 s13, v1
	s_add_u32 s11, s12, 1
	s_addc_u32 s14, s13, 0
	s_add_u32 s4, s11, s8
	s_addc_u32 s5, s14, s9
	s_cmp_eq_u64 s[4:5], 0
	s_cselect_b32 s5, s14, s5
	s_cselect_b32 s4, s11, s4
	v_mov_b32_e32 v8, s5
	s_and_b64 s[8:9], s[4:5], s[12:13]
	v_mov_b32_e32 v7, s4
	s_mul_i32 s9, s9, 24
	s_mul_hi_u32 s11, s8, 24
	s_mul_i32 s8, s8, 24
	s_add_i32 s11, s11, s9
	s_waitcnt vmcnt(0)
	v_add_co_u32 v4, vcc_lo, v2, s8
	v_add_co_ci_u32_e64 v5, null, s11, v3, vcc_lo
	global_store_dwordx2 v[4:5], v[9:10], off
	s_waitcnt_vscnt null, 0x0
	global_atomic_cmpswap_x2 v[2:3], v6, v[7:10], s[6:7] offset:24 glc
	s_waitcnt vmcnt(0)
	v_cmp_ne_u64_e32 vcc_lo, v[2:3], v[9:10]
	s_and_b32 exec_lo, exec_lo, vcc_lo
	s_cbranch_execz .LBB0_112
; %bb.110:
	s_mov_b32 s8, 0
.LBB0_111:                              ; =>This Inner Loop Header: Depth=1
	v_mov_b32_e32 v0, s4
	v_mov_b32_e32 v1, s5
	s_sleep 1
	global_store_dwordx2 v[4:5], v[2:3], off
	s_waitcnt_vscnt null, 0x0
	global_atomic_cmpswap_x2 v[0:1], v6, v[0:3], s[6:7] offset:24 glc
	s_waitcnt vmcnt(0)
	v_cmp_eq_u64_e32 vcc_lo, v[0:1], v[2:3]
	v_mov_b32_e32 v3, v1
	v_mov_b32_e32 v2, v0
	s_or_b32 s8, vcc_lo, s8
	s_andn2_b32 exec_lo, exec_lo, s8
	s_cbranch_execnz .LBB0_111
.LBB0_112:
	s_or_b32 exec_lo, exec_lo, s10
	s_waitcnt lgkmcnt(0)
	s_setpc_b64 s[30:31]
.LBB0_113:
	s_cbranch_execnz .LBB0_86
.LBB0_114:
	s_waitcnt vmcnt(0) lgkmcnt(0)
	s_setpc_b64 s[30:31]
.Lfunc_end0:
	.size	__ockl_fprintf_append_string_n, .Lfunc_end0-__ockl_fprintf_append_string_n
                                        ; -- End function
	.set .L__ockl_fprintf_append_string_n.num_vgpr, 39
	.set .L__ockl_fprintf_append_string_n.num_agpr, 0
	.set .L__ockl_fprintf_append_string_n.numbered_sgpr, 32
	.set .L__ockl_fprintf_append_string_n.num_named_barrier, 0
	.set .L__ockl_fprintf_append_string_n.private_seg_size, 0
	.set .L__ockl_fprintf_append_string_n.uses_vcc, 1
	.set .L__ockl_fprintf_append_string_n.uses_flat_scratch, 0
	.set .L__ockl_fprintf_append_string_n.has_dyn_sized_stack, 0
	.set .L__ockl_fprintf_append_string_n.has_recursion, 0
	.set .L__ockl_fprintf_append_string_n.has_indirect_call, 0
	.section	.AMDGPU.csdata,"",@progbits
; Function info:
; codeLenInByte = 4528
; TotalNumSgprs: 34
; NumVgprs: 39
; ScratchSize: 0
; MemoryBound: 0
	.text
	.p2align	2                               ; -- Begin function __assert_fail
	.type	__assert_fail,@function
__assert_fail:                          ; @__assert_fail
; %bb.0:
	s_waitcnt vmcnt(0) expcnt(0) lgkmcnt(0)
	s_mov_b32 s24, s33
	s_mov_b32 s33, s32
	s_xor_saveexec_b32 s4, -1
	buffer_store_dword v39, off, s[0:3], s33 offset:48 ; 4-byte Folded Spill
	s_mov_b32 exec_lo, s4
	v_writelane_b32 v39, s30, 0
	s_addk_i32 s32, 0x800
	v_writelane_b32 v39, s31, 1
	v_mov_b32_e32 v4, v0
	v_mov_b32_e32 v0, 0
	s_getpc_b64 s[4:5]
	s_add_u32 s4, s4, __const.__assert_fail.fmt@rel32@lo+35
	s_addc_u32 s5, s5, __const.__assert_fail.fmt@rel32@hi+43
	v_mbcnt_lo_u32_b32 v32, -1, 0
	v_mov_b32_e32 v6, 0
	v_mov_b32_e32 v5, v1
	global_load_dwordx4 v[8:11], v0, s[4:5]
	s_getpc_b64 s[4:5]
	s_add_u32 s4, s4, __const.__assert_fail.fmt@rel32@lo+4
	s_addc_u32 s5, s5, __const.__assert_fail.fmt@rel32@hi+12
	s_getpc_b64 s[6:7]
	s_add_u32 s6, s6, __const.__assert_fail.fmt@rel32@lo+20
	s_addc_u32 s7, s7, __const.__assert_fail.fmt@rel32@hi+28
	s_clause 0x1
	s_load_dwordx4 s[12:15], s[4:5], 0x0
	s_load_dwordx4 s[16:19], s[6:7], 0x0
	s_load_dwordx2 s[6:7], s[8:9], 0x50
	v_readfirstlane_b32 s4, v32
	v_mov_b32_e32 v7, 0
	v_cmp_eq_u32_e64 s4, s4, v32
	s_waitcnt lgkmcnt(0)
	v_mov_b32_e32 v1, s15
	v_mov_b32_e32 v2, s14
	;; [unrolled: 1-line block ×8, first 2 shown]
	buffer_store_dword v1, off, s[0:3], s33 offset:12
	buffer_store_dword v2, off, s[0:3], s33 offset:8
	;; [unrolled: 1-line block ×3, first 2 shown]
	buffer_store_dword v12, off, s[0:3], s33
	buffer_store_dword v13, off, s[0:3], s33 offset:28
	buffer_store_dword v14, off, s[0:3], s33 offset:24
	;; [unrolled: 1-line block ×4, first 2 shown]
	s_waitcnt vmcnt(0)
	buffer_store_dword v11, off, s[0:3], s33 offset:43
	buffer_store_dword v10, off, s[0:3], s33 offset:39
	;; [unrolled: 1-line block ×4, first 2 shown]
	s_and_saveexec_b32 s5, s4
	s_cbranch_execz .LBB1_6
; %bb.1:
	global_load_dwordx2 v[8:9], v0, s[6:7] offset:24 glc dlc
	s_waitcnt vmcnt(0)
	buffer_gl1_inv
	buffer_gl0_inv
	s_clause 0x1
	global_load_dwordx2 v[1:2], v0, s[6:7] offset:40
	global_load_dwordx2 v[6:7], v0, s[6:7]
	s_mov_b32 s10, exec_lo
	s_waitcnt vmcnt(1)
	v_and_b32_e32 v2, v2, v9
	v_and_b32_e32 v1, v1, v8
	v_mul_lo_u32 v2, v2, 24
	v_mul_hi_u32 v3, v1, 24
	v_mul_lo_u32 v1, v1, 24
	v_add_nc_u32_e32 v2, v3, v2
	s_waitcnt vmcnt(0)
	v_add_co_u32 v1, vcc_lo, v6, v1
	v_add_co_ci_u32_e64 v2, null, v7, v2, vcc_lo
	global_load_dwordx2 v[6:7], v[1:2], off glc dlc
	s_waitcnt vmcnt(0)
	global_atomic_cmpswap_x2 v[6:7], v0, v[6:9], s[6:7] offset:24 glc
	s_waitcnt vmcnt(0)
	buffer_gl1_inv
	buffer_gl0_inv
	v_cmpx_ne_u64_e64 v[6:7], v[8:9]
	s_cbranch_execz .LBB1_5
; %bb.2:
	v_mov_b32_e32 v1, 0
	s_mov_b32 s11, 0
	.p2align	6
.LBB1_3:                                ; =>This Inner Loop Header: Depth=1
	s_sleep 1
	s_clause 0x1
	global_load_dwordx2 v[2:3], v1, s[6:7] offset:40
	global_load_dwordx2 v[10:11], v1, s[6:7]
	v_mov_b32_e32 v9, v7
	v_mov_b32_e32 v8, v6
	s_waitcnt vmcnt(1)
	v_and_b32_e32 v2, v2, v8
	v_and_b32_e32 v3, v3, v9
	s_waitcnt vmcnt(0)
	v_mad_u64_u32 v[6:7], null, v2, 24, v[10:11]
	v_mov_b32_e32 v2, v7
	v_mad_u64_u32 v[2:3], null, v3, 24, v[2:3]
	v_mov_b32_e32 v7, v2
	global_load_dwordx2 v[6:7], v[6:7], off glc dlc
	s_waitcnt vmcnt(0)
	global_atomic_cmpswap_x2 v[6:7], v1, v[6:9], s[6:7] offset:24 glc
	s_waitcnt vmcnt(0)
	buffer_gl1_inv
	buffer_gl0_inv
	v_cmp_eq_u64_e32 vcc_lo, v[6:7], v[8:9]
	s_or_b32 s11, vcc_lo, s11
	s_andn2_b32 exec_lo, exec_lo, s11
	s_cbranch_execnz .LBB1_3
; %bb.4:
	s_or_b32 exec_lo, exec_lo, s11
.LBB1_5:
	s_or_b32 exec_lo, exec_lo, s10
.LBB1_6:
	s_or_b32 exec_lo, exec_lo, s5
	s_clause 0x1
	global_load_dwordx2 v[8:9], v0, s[6:7] offset:40
	global_load_dwordx4 v[0:3], v0, s[6:7]
	v_readfirstlane_b32 s11, v7
	v_readfirstlane_b32 s10, v6
	s_mov_b32 s5, exec_lo
	s_waitcnt vmcnt(1)
	v_readfirstlane_b32 s12, v8
	v_readfirstlane_b32 s13, v9
	s_and_b64 s[12:13], s[12:13], s[10:11]
	s_mul_i32 s14, s13, 24
	s_mul_hi_u32 s15, s12, 24
	s_mul_i32 s16, s12, 24
	s_add_i32 s15, s15, s14
	s_waitcnt vmcnt(0)
	v_add_co_u32 v10, vcc_lo, v0, s16
	v_add_co_ci_u32_e64 v11, null, s15, v1, vcc_lo
	s_and_saveexec_b32 s14, s4
	s_cbranch_execz .LBB1_8
; %bb.7:
	v_mov_b32_e32 v6, s5
	v_mov_b32_e32 v7, 0
	;; [unrolled: 1-line block ×4, first 2 shown]
	global_store_dwordx4 v[10:11], v[6:9], off offset:8
.LBB1_8:
	s_or_b32 exec_lo, exec_lo, s14
	s_lshl_b64 s[12:13], s[12:13], 12
	v_lshlrev_b32_e32 v33, 6, v32
	v_add_co_u32 v2, vcc_lo, v2, s12
	v_add_co_ci_u32_e64 v3, null, s13, v3, vcc_lo
	v_mov_b32_e32 v7, 0
	s_mov_b32 s12, 0
	v_add_co_u32 v12, vcc_lo, v2, v33
	s_mov_b32 s15, s12
	s_mov_b32 s13, s12
	;; [unrolled: 1-line block ×3, first 2 shown]
	v_mov_b32_e32 v6, 33
	v_mov_b32_e32 v8, 1
	;; [unrolled: 1-line block ×3, first 2 shown]
	v_readfirstlane_b32 s16, v2
	v_readfirstlane_b32 s17, v3
	v_mov_b32_e32 v17, s15
	v_add_co_ci_u32_e64 v13, null, 0, v3, vcc_lo
	v_mov_b32_e32 v16, s14
	v_mov_b32_e32 v15, s13
	;; [unrolled: 1-line block ×3, first 2 shown]
	global_store_dwordx4 v33, v[6:9], s[16:17]
	global_store_dwordx4 v33, v[14:17], s[16:17] offset:16
	global_store_dwordx4 v33, v[14:17], s[16:17] offset:32
	;; [unrolled: 1-line block ×3, first 2 shown]
	s_and_saveexec_b32 s5, s4
	s_cbranch_execz .LBB1_16
; %bb.9:
	s_clause 0x1
	global_load_dwordx2 v[16:17], v7, s[6:7] offset:32 glc dlc
	global_load_dwordx2 v[2:3], v7, s[6:7] offset:40
	v_mov_b32_e32 v14, s10
	v_mov_b32_e32 v15, s11
	s_mov_b32 s12, exec_lo
	s_waitcnt vmcnt(0)
	v_and_b32_e32 v3, s11, v3
	v_and_b32_e32 v2, s10, v2
	v_mul_lo_u32 v3, v3, 24
	v_mul_hi_u32 v6, v2, 24
	v_mul_lo_u32 v2, v2, 24
	v_add_nc_u32_e32 v3, v6, v3
	v_add_co_u32 v8, vcc_lo, v0, v2
	v_add_co_ci_u32_e64 v9, null, v1, v3, vcc_lo
	global_store_dwordx2 v[8:9], v[16:17], off
	s_waitcnt_vscnt null, 0x0
	global_atomic_cmpswap_x2 v[2:3], v7, v[14:17], s[6:7] offset:32 glc
	s_waitcnt vmcnt(0)
	v_cmpx_ne_u64_e64 v[2:3], v[16:17]
	s_cbranch_execz .LBB1_12
; %bb.10:
	v_mov_b32_e32 v6, 0
	s_mov_b32 s13, 0
.LBB1_11:                               ; =>This Inner Loop Header: Depth=1
	v_mov_b32_e32 v0, s10
	v_mov_b32_e32 v1, s11
	s_sleep 1
	global_store_dwordx2 v[8:9], v[2:3], off
	s_waitcnt_vscnt null, 0x0
	global_atomic_cmpswap_x2 v[0:1], v6, v[0:3], s[6:7] offset:32 glc
	s_waitcnt vmcnt(0)
	v_cmp_eq_u64_e32 vcc_lo, v[0:1], v[2:3]
	v_mov_b32_e32 v3, v1
	v_mov_b32_e32 v2, v0
	s_or_b32 s13, vcc_lo, s13
	s_andn2_b32 exec_lo, exec_lo, s13
	s_cbranch_execnz .LBB1_11
.LBB1_12:
	s_or_b32 exec_lo, exec_lo, s12
	v_mov_b32_e32 v3, 0
	s_mov_b32 s13, exec_lo
	s_mov_b32 s12, exec_lo
	v_mbcnt_lo_u32_b32 v2, s13, 0
	global_load_dwordx2 v[0:1], v3, s[6:7] offset:16
	v_cmpx_eq_u32_e32 0, v2
	s_cbranch_execz .LBB1_14
; %bb.13:
	s_bcnt1_i32_b32 s13, s13
	v_mov_b32_e32 v2, s13
	s_waitcnt vmcnt(0)
	global_atomic_add_x2 v[0:1], v[2:3], off offset:8
.LBB1_14:
	s_or_b32 exec_lo, exec_lo, s12
	s_waitcnt vmcnt(0)
	global_load_dwordx2 v[2:3], v[0:1], off offset:16
	s_waitcnt vmcnt(0)
	v_cmp_eq_u64_e32 vcc_lo, 0, v[2:3]
	s_cbranch_vccnz .LBB1_16
; %bb.15:
	global_load_dword v0, v[0:1], off offset:24
	v_mov_b32_e32 v1, 0
	s_waitcnt vmcnt(0)
	v_readfirstlane_b32 s12, v0
	s_waitcnt_vscnt null, 0x0
	global_store_dwordx2 v[2:3], v[0:1], off
	s_and_b32 m0, s12, 0x7fffff
	s_sendmsg sendmsg(MSG_INTERRUPT)
.LBB1_16:
	s_or_b32 exec_lo, exec_lo, s5
	s_branch .LBB1_20
	.p2align	6
.LBB1_17:                               ;   in Loop: Header=BB1_20 Depth=1
	s_or_b32 exec_lo, exec_lo, s5
	v_readfirstlane_b32 s5, v0
	s_cmp_eq_u32 s5, 0
	s_cbranch_scc1 .LBB1_19
; %bb.18:                               ;   in Loop: Header=BB1_20 Depth=1
	s_sleep 1
	s_cbranch_execnz .LBB1_20
	s_branch .LBB1_22
	.p2align	6
.LBB1_19:
	s_branch .LBB1_22
.LBB1_20:                               ; =>This Inner Loop Header: Depth=1
	v_mov_b32_e32 v0, 1
	s_and_saveexec_b32 s5, s4
	s_cbranch_execz .LBB1_17
; %bb.21:                               ;   in Loop: Header=BB1_20 Depth=1
	global_load_dword v0, v[10:11], off offset:20 glc dlc
	s_waitcnt vmcnt(0)
	buffer_gl1_inv
	buffer_gl0_inv
	v_and_b32_e32 v0, 1, v0
	s_branch .LBB1_17
.LBB1_22:
	global_load_dwordx2 v[6:7], v[12:13], off
	s_and_saveexec_b32 s12, s4
	s_cbranch_execz .LBB1_26
; %bb.23:
	v_mov_b32_e32 v10, 0
	s_clause 0x2
	global_load_dwordx2 v[0:1], v10, s[6:7] offset:40
	global_load_dwordx2 v[13:14], v10, s[6:7] offset:24 glc dlc
	global_load_dwordx2 v[2:3], v10, s[6:7]
	s_waitcnt vmcnt(2)
	v_readfirstlane_b32 s14, v0
	v_readfirstlane_b32 s15, v1
	s_add_u32 s13, s14, 1
	s_addc_u32 s16, s15, 0
	s_add_u32 s4, s13, s10
	s_addc_u32 s5, s16, s11
	s_cmp_eq_u64 s[4:5], 0
	s_cselect_b32 s5, s16, s5
	s_cselect_b32 s4, s13, s4
	v_mov_b32_e32 v12, s5
	s_and_b64 s[10:11], s[4:5], s[14:15]
	v_mov_b32_e32 v11, s4
	s_mul_i32 s11, s11, 24
	s_mul_hi_u32 s13, s10, 24
	s_mul_i32 s10, s10, 24
	s_add_i32 s13, s13, s11
	s_waitcnt vmcnt(0)
	v_add_co_u32 v8, vcc_lo, v2, s10
	v_add_co_ci_u32_e64 v9, null, s13, v3, vcc_lo
	global_store_dwordx2 v[8:9], v[13:14], off
	s_waitcnt_vscnt null, 0x0
	global_atomic_cmpswap_x2 v[2:3], v10, v[11:14], s[6:7] offset:24 glc
	s_waitcnt vmcnt(0)
	v_cmp_ne_u64_e32 vcc_lo, v[2:3], v[13:14]
	s_and_b32 exec_lo, exec_lo, vcc_lo
	s_cbranch_execz .LBB1_26
; %bb.24:
	s_mov_b32 s10, 0
.LBB1_25:                               ; =>This Inner Loop Header: Depth=1
	v_mov_b32_e32 v0, s4
	v_mov_b32_e32 v1, s5
	s_sleep 1
	global_store_dwordx2 v[8:9], v[2:3], off
	s_waitcnt_vscnt null, 0x0
	global_atomic_cmpswap_x2 v[0:1], v10, v[0:3], s[6:7] offset:24 glc
	s_waitcnt vmcnt(0)
	v_cmp_eq_u64_e32 vcc_lo, v[0:1], v[2:3]
	v_mov_b32_e32 v3, v1
	v_mov_b32_e32 v2, v0
	s_or_b32 s10, vcc_lo, s10
	s_andn2_b32 exec_lo, exec_lo, s10
	s_cbranch_execnz .LBB1_25
.LBB1_26:
	s_or_b32 exec_lo, exec_lo, s12
	s_lshr_b32 s5, s33, 5
	s_mov_b32 s4, 0
.LBB1_27:                               ; =>This Inner Loop Header: Depth=1
	v_mov_b32_e32 v0, s5
	s_add_i32 s5, s5, 1
	buffer_load_ubyte v0, v0, s[0:3], 0 offen
	s_waitcnt vmcnt(0)
	v_cmp_eq_u16_e32 vcc_lo, 0, v0
	v_mov_b32_e32 v0, s5
	s_or_b32 s4, vcc_lo, s4
	s_andn2_b32 exec_lo, exec_lo, s4
	s_cbranch_execnz .LBB1_27
; %bb.28:
	s_or_b32 exec_lo, exec_lo, s4
	s_lshr_b32 s4, s33, 5
	s_cmp_lg_u32 s4, -1
	s_cbranch_scc0 .LBB1_113
; %bb.29:
	v_lshrrev_b32_e64 v1, 5, s33
	v_and_b32_e32 v34, 2, v6
	v_mov_b32_e32 v9, 0
	v_lshrrev_b32_e64 v35, 5, s33
	v_mov_b32_e32 v10, 2
	v_subrev_nc_u32_e32 v28, v1, v0
	v_and_b32_e32 v0, -3, v6
	v_mov_b32_e32 v1, v7
	v_mov_b32_e32 v11, 1
	s_mov_b32 s15, 0
	v_ashrrev_i32_e32 v29, 31, v28
	s_mov_b32 s14, 0
	s_branch .LBB1_31
.LBB1_30:                               ;   in Loop: Header=BB1_31 Depth=1
	s_or_b32 exec_lo, exec_lo, s12
	v_sub_co_u32 v28, vcc_lo, v28, v36
	v_sub_co_ci_u32_e64 v29, null, v29, v26, vcc_lo
	v_add_nc_u32_e32 v35, v35, v36
	v_cmp_eq_u64_e32 vcc_lo, 0, v[28:29]
	s_or_b32 s14, vcc_lo, s14
	s_andn2_b32 exec_lo, exec_lo, s14
	s_cbranch_execz .LBB1_114
.LBB1_31:                               ; =>This Loop Header: Depth=1
                                        ;     Child Loop BB1_34 Depth 2
                                        ;     Child Loop BB1_42 Depth 2
	;; [unrolled: 1-line block ×11, first 2 shown]
	v_cmp_gt_u64_e32 vcc_lo, 56, v[28:29]
	v_add_nc_u32_e32 v14, 8, v35
	s_mov_b32 s5, exec_lo
	v_cndmask_b32_e32 v36, 56, v28, vcc_lo
	v_cmpx_gt_u64_e32 8, v[28:29]
	s_xor_b32 s5, exec_lo, s5
	s_cbranch_execz .LBB1_37
; %bb.32:                               ;   in Loop: Header=BB1_31 Depth=1
	v_mov_b32_e32 v2, 0
	v_mov_b32_e32 v3, 0
	s_mov_b32 s12, exec_lo
	v_cmpx_ne_u64_e32 0, v[28:29]
	s_cbranch_execz .LBB1_36
; %bb.33:                               ;   in Loop: Header=BB1_31 Depth=1
	v_mov_b32_e32 v2, 0
	v_mov_b32_e32 v3, 0
	s_mov_b64 s[10:11], 0
	s_mov_b32 s13, 0
	s_mov_b32 s16, 0
	.p2align	6
.LBB1_34:                               ;   Parent Loop BB1_31 Depth=1
                                        ; =>  This Inner Loop Header: Depth=2
	v_add_nc_u32_e32 v8, s16, v35
	v_mov_b32_e32 v13, s15
	s_add_i32 s16, s16, 1
	v_cmp_eq_u32_e64 s4, s16, v36
	buffer_load_ubyte v8, v8, s[0:3], 0 offen
	s_waitcnt vmcnt(0)
	v_and_b32_e32 v12, 0xffff, v8
	v_lshlrev_b64 v[12:13], s10, v[12:13]
	s_add_u32 s10, s10, 8
	s_addc_u32 s11, s11, 0
	s_or_b32 s13, s4, s13
	v_or_b32_e32 v3, v13, v3
	v_or_b32_e32 v2, v12, v2
	s_andn2_b32 exec_lo, exec_lo, s13
	s_cbranch_execnz .LBB1_34
; %bb.35:                               ;   in Loop: Header=BB1_31 Depth=1
	s_or_b32 exec_lo, exec_lo, s13
.LBB1_36:                               ;   in Loop: Header=BB1_31 Depth=1
	s_or_b32 exec_lo, exec_lo, s12
	v_mov_b32_e32 v14, v35
.LBB1_37:                               ;   in Loop: Header=BB1_31 Depth=1
	s_or_saveexec_b32 s4, s5
	v_mov_b32_e32 v15, 0
	s_xor_b32 exec_lo, exec_lo, s4
	s_cbranch_execz .LBB1_39
; %bb.38:                               ;   in Loop: Header=BB1_31 Depth=1
	s_clause 0x1
	buffer_load_dword v2, v35, s[0:3], 0 offen
	buffer_load_dword v3, v35, s[0:3], 0 offen offset:4
	v_add_nc_u32_e32 v15, -8, v36
.LBB1_39:                               ;   in Loop: Header=BB1_31 Depth=1
	s_or_b32 exec_lo, exec_lo, s4
	v_add_nc_u32_e32 v8, 8, v14
	s_mov_b32 s5, exec_lo
                                        ; implicit-def: $vgpr12_vgpr13
	v_cmpx_gt_u32_e32 8, v15
	s_xor_b32 s5, exec_lo, s5
	s_cbranch_execz .LBB1_45
; %bb.40:                               ;   in Loop: Header=BB1_31 Depth=1
	v_mov_b32_e32 v12, 0
	v_mov_b32_e32 v13, 0
	s_mov_b32 s12, exec_lo
	v_cmpx_ne_u32_e32 0, v15
	s_cbranch_execz .LBB1_44
; %bb.41:                               ;   in Loop: Header=BB1_31 Depth=1
	v_mov_b32_e32 v12, 0
	v_mov_b32_e32 v13, 0
	s_mov_b64 s[10:11], 0
	s_mov_b32 s13, 0
	s_mov_b32 s16, 0
	.p2align	6
.LBB1_42:                               ;   Parent Loop BB1_31 Depth=1
                                        ; =>  This Inner Loop Header: Depth=2
	v_add_nc_u32_e32 v8, s16, v14
	v_mov_b32_e32 v17, s15
	s_add_i32 s16, s16, 1
	v_cmp_eq_u32_e64 s4, s16, v15
	buffer_load_ubyte v8, v8, s[0:3], 0 offen
	s_waitcnt vmcnt(0)
	v_and_b32_e32 v16, 0xffff, v8
	v_lshlrev_b64 v[16:17], s10, v[16:17]
	s_add_u32 s10, s10, 8
	s_addc_u32 s11, s11, 0
	s_or_b32 s13, s4, s13
	v_or_b32_e32 v13, v17, v13
	v_or_b32_e32 v12, v16, v12
	s_andn2_b32 exec_lo, exec_lo, s13
	s_cbranch_execnz .LBB1_42
; %bb.43:                               ;   in Loop: Header=BB1_31 Depth=1
	s_or_b32 exec_lo, exec_lo, s13
.LBB1_44:                               ;   in Loop: Header=BB1_31 Depth=1
	s_or_b32 exec_lo, exec_lo, s12
	v_mov_b32_e32 v8, v14
                                        ; implicit-def: $vgpr15
.LBB1_45:                               ;   in Loop: Header=BB1_31 Depth=1
	s_or_saveexec_b32 s4, s5
	v_mov_b32_e32 v16, 0
	s_xor_b32 exec_lo, exec_lo, s4
	s_cbranch_execz .LBB1_47
; %bb.46:                               ;   in Loop: Header=BB1_31 Depth=1
	s_clause 0x1
	buffer_load_dword v12, v14, s[0:3], 0 offen
	buffer_load_dword v13, v14, s[0:3], 0 offen offset:4
	v_add_nc_u32_e32 v16, -8, v15
.LBB1_47:                               ;   in Loop: Header=BB1_31 Depth=1
	s_or_b32 exec_lo, exec_lo, s4
	v_add_nc_u32_e32 v18, 8, v8
	s_mov_b32 s5, exec_lo
	v_cmpx_gt_u32_e32 8, v16
	s_xor_b32 s5, exec_lo, s5
	s_cbranch_execz .LBB1_53
; %bb.48:                               ;   in Loop: Header=BB1_31 Depth=1
	v_mov_b32_e32 v14, 0
	v_mov_b32_e32 v15, 0
	s_mov_b32 s12, exec_lo
	v_cmpx_ne_u32_e32 0, v16
	s_cbranch_execz .LBB1_52
; %bb.49:                               ;   in Loop: Header=BB1_31 Depth=1
	v_mov_b32_e32 v14, 0
	v_mov_b32_e32 v15, 0
	s_mov_b64 s[10:11], 0
	s_mov_b32 s13, 0
	s_mov_b32 s16, 0
	.p2align	6
.LBB1_50:                               ;   Parent Loop BB1_31 Depth=1
                                        ; =>  This Inner Loop Header: Depth=2
	v_add_nc_u32_e32 v17, s16, v8
	v_mov_b32_e32 v18, s15
	s_add_i32 s16, s16, 1
	v_cmp_eq_u32_e64 s4, s16, v16
	buffer_load_ubyte v17, v17, s[0:3], 0 offen
	s_waitcnt vmcnt(0)
	v_and_b32_e32 v17, 0xffff, v17
	v_lshlrev_b64 v[17:18], s10, v[17:18]
	s_add_u32 s10, s10, 8
	s_addc_u32 s11, s11, 0
	s_or_b32 s13, s4, s13
	v_or_b32_e32 v15, v18, v15
	v_or_b32_e32 v14, v17, v14
	s_andn2_b32 exec_lo, exec_lo, s13
	s_cbranch_execnz .LBB1_50
; %bb.51:                               ;   in Loop: Header=BB1_31 Depth=1
	s_or_b32 exec_lo, exec_lo, s13
.LBB1_52:                               ;   in Loop: Header=BB1_31 Depth=1
	s_or_b32 exec_lo, exec_lo, s12
	v_mov_b32_e32 v18, v8
                                        ; implicit-def: $vgpr16
.LBB1_53:                               ;   in Loop: Header=BB1_31 Depth=1
	s_or_saveexec_b32 s4, s5
	v_mov_b32_e32 v19, 0
	s_xor_b32 exec_lo, exec_lo, s4
	s_cbranch_execz .LBB1_55
; %bb.54:                               ;   in Loop: Header=BB1_31 Depth=1
	s_clause 0x1
	buffer_load_dword v14, v8, s[0:3], 0 offen
	buffer_load_dword v15, v8, s[0:3], 0 offen offset:4
	v_add_nc_u32_e32 v19, -8, v16
.LBB1_55:                               ;   in Loop: Header=BB1_31 Depth=1
	s_or_b32 exec_lo, exec_lo, s4
	v_add_nc_u32_e32 v8, 8, v18
	s_mov_b32 s5, exec_lo
                                        ; implicit-def: $vgpr16_vgpr17
	v_cmpx_gt_u32_e32 8, v19
	s_xor_b32 s5, exec_lo, s5
	s_cbranch_execz .LBB1_61
; %bb.56:                               ;   in Loop: Header=BB1_31 Depth=1
	v_mov_b32_e32 v16, 0
	v_mov_b32_e32 v17, 0
	s_mov_b32 s12, exec_lo
	v_cmpx_ne_u32_e32 0, v19
	s_cbranch_execz .LBB1_60
; %bb.57:                               ;   in Loop: Header=BB1_31 Depth=1
	v_mov_b32_e32 v16, 0
	v_mov_b32_e32 v17, 0
	s_mov_b64 s[10:11], 0
	s_mov_b32 s13, 0
	s_mov_b32 s16, 0
	.p2align	6
.LBB1_58:                               ;   Parent Loop BB1_31 Depth=1
                                        ; =>  This Inner Loop Header: Depth=2
	v_add_nc_u32_e32 v8, s16, v18
	v_mov_b32_e32 v21, s15
	s_add_i32 s16, s16, 1
	v_cmp_eq_u32_e64 s4, s16, v19
	buffer_load_ubyte v8, v8, s[0:3], 0 offen
	s_waitcnt vmcnt(0)
	v_and_b32_e32 v20, 0xffff, v8
	v_lshlrev_b64 v[20:21], s10, v[20:21]
	s_add_u32 s10, s10, 8
	s_addc_u32 s11, s11, 0
	s_or_b32 s13, s4, s13
	v_or_b32_e32 v17, v21, v17
	v_or_b32_e32 v16, v20, v16
	s_andn2_b32 exec_lo, exec_lo, s13
	s_cbranch_execnz .LBB1_58
; %bb.59:                               ;   in Loop: Header=BB1_31 Depth=1
	s_or_b32 exec_lo, exec_lo, s13
.LBB1_60:                               ;   in Loop: Header=BB1_31 Depth=1
	s_or_b32 exec_lo, exec_lo, s12
	v_mov_b32_e32 v8, v18
                                        ; implicit-def: $vgpr19
.LBB1_61:                               ;   in Loop: Header=BB1_31 Depth=1
	s_or_saveexec_b32 s4, s5
	v_mov_b32_e32 v20, 0
	s_xor_b32 exec_lo, exec_lo, s4
	s_cbranch_execz .LBB1_63
; %bb.62:                               ;   in Loop: Header=BB1_31 Depth=1
	s_clause 0x1
	buffer_load_dword v16, v18, s[0:3], 0 offen
	buffer_load_dword v17, v18, s[0:3], 0 offen offset:4
	v_add_nc_u32_e32 v20, -8, v19
.LBB1_63:                               ;   in Loop: Header=BB1_31 Depth=1
	s_or_b32 exec_lo, exec_lo, s4
	v_add_nc_u32_e32 v22, 8, v8
	s_mov_b32 s5, exec_lo
	v_cmpx_gt_u32_e32 8, v20
	s_xor_b32 s5, exec_lo, s5
	s_cbranch_execz .LBB1_69
; %bb.64:                               ;   in Loop: Header=BB1_31 Depth=1
	v_mov_b32_e32 v18, 0
	v_mov_b32_e32 v19, 0
	s_mov_b32 s12, exec_lo
	v_cmpx_ne_u32_e32 0, v20
	s_cbranch_execz .LBB1_68
; %bb.65:                               ;   in Loop: Header=BB1_31 Depth=1
	v_mov_b32_e32 v18, 0
	v_mov_b32_e32 v19, 0
	s_mov_b64 s[10:11], 0
	s_mov_b32 s13, 0
	s_mov_b32 s16, 0
	.p2align	6
.LBB1_66:                               ;   Parent Loop BB1_31 Depth=1
                                        ; =>  This Inner Loop Header: Depth=2
	v_add_nc_u32_e32 v21, s16, v8
	v_mov_b32_e32 v22, s15
	s_add_i32 s16, s16, 1
	v_cmp_eq_u32_e64 s4, s16, v20
	buffer_load_ubyte v21, v21, s[0:3], 0 offen
	s_waitcnt vmcnt(0)
	v_and_b32_e32 v21, 0xffff, v21
	v_lshlrev_b64 v[21:22], s10, v[21:22]
	s_add_u32 s10, s10, 8
	s_addc_u32 s11, s11, 0
	s_or_b32 s13, s4, s13
	v_or_b32_e32 v19, v22, v19
	v_or_b32_e32 v18, v21, v18
	s_andn2_b32 exec_lo, exec_lo, s13
	s_cbranch_execnz .LBB1_66
; %bb.67:                               ;   in Loop: Header=BB1_31 Depth=1
	s_or_b32 exec_lo, exec_lo, s13
.LBB1_68:                               ;   in Loop: Header=BB1_31 Depth=1
	s_or_b32 exec_lo, exec_lo, s12
	v_mov_b32_e32 v22, v8
                                        ; implicit-def: $vgpr20
.LBB1_69:                               ;   in Loop: Header=BB1_31 Depth=1
	s_or_saveexec_b32 s4, s5
	v_mov_b32_e32 v23, 0
	s_xor_b32 exec_lo, exec_lo, s4
	s_cbranch_execz .LBB1_71
; %bb.70:                               ;   in Loop: Header=BB1_31 Depth=1
	s_clause 0x1
	buffer_load_dword v18, v8, s[0:3], 0 offen
	buffer_load_dword v19, v8, s[0:3], 0 offen offset:4
	v_add_nc_u32_e32 v23, -8, v20
.LBB1_71:                               ;   in Loop: Header=BB1_31 Depth=1
	s_or_b32 exec_lo, exec_lo, s4
	v_add_nc_u32_e32 v8, 8, v22
	s_mov_b32 s5, exec_lo
                                        ; implicit-def: $vgpr20_vgpr21
	v_cmpx_gt_u32_e32 8, v23
	s_xor_b32 s5, exec_lo, s5
	s_cbranch_execz .LBB1_77
; %bb.72:                               ;   in Loop: Header=BB1_31 Depth=1
	v_mov_b32_e32 v20, 0
	v_mov_b32_e32 v21, 0
	s_mov_b32 s12, exec_lo
	v_cmpx_ne_u32_e32 0, v23
	s_cbranch_execz .LBB1_76
; %bb.73:                               ;   in Loop: Header=BB1_31 Depth=1
	v_mov_b32_e32 v20, 0
	v_mov_b32_e32 v21, 0
	s_mov_b64 s[10:11], 0
	s_mov_b32 s13, 0
	s_mov_b32 s16, 0
	.p2align	6
.LBB1_74:                               ;   Parent Loop BB1_31 Depth=1
                                        ; =>  This Inner Loop Header: Depth=2
	v_add_nc_u32_e32 v8, s16, v22
	v_mov_b32_e32 v25, s15
	s_add_i32 s16, s16, 1
	v_cmp_eq_u32_e64 s4, s16, v23
	buffer_load_ubyte v8, v8, s[0:3], 0 offen
	s_waitcnt vmcnt(0)
	v_and_b32_e32 v24, 0xffff, v8
	v_lshlrev_b64 v[24:25], s10, v[24:25]
	s_add_u32 s10, s10, 8
	s_addc_u32 s11, s11, 0
	s_or_b32 s13, s4, s13
	v_or_b32_e32 v21, v25, v21
	v_or_b32_e32 v20, v24, v20
	s_andn2_b32 exec_lo, exec_lo, s13
	s_cbranch_execnz .LBB1_74
; %bb.75:                               ;   in Loop: Header=BB1_31 Depth=1
	s_or_b32 exec_lo, exec_lo, s13
.LBB1_76:                               ;   in Loop: Header=BB1_31 Depth=1
	s_or_b32 exec_lo, exec_lo, s12
	v_mov_b32_e32 v8, v22
                                        ; implicit-def: $vgpr23
.LBB1_77:                               ;   in Loop: Header=BB1_31 Depth=1
	s_or_saveexec_b32 s4, s5
	v_mov_b32_e32 v24, 0
	s_xor_b32 exec_lo, exec_lo, s4
	s_cbranch_execz .LBB1_79
; %bb.78:                               ;   in Loop: Header=BB1_31 Depth=1
	s_clause 0x1
	buffer_load_dword v20, v22, s[0:3], 0 offen
	buffer_load_dword v21, v22, s[0:3], 0 offen offset:4
	v_add_nc_u32_e32 v24, -8, v23
.LBB1_79:                               ;   in Loop: Header=BB1_31 Depth=1
	s_or_b32 exec_lo, exec_lo, s4
	s_mov_b32 s5, exec_lo
	v_cmpx_gt_u32_e32 8, v24
	s_xor_b32 s5, exec_lo, s5
	s_cbranch_execz .LBB1_85
; %bb.80:                               ;   in Loop: Header=BB1_31 Depth=1
	v_mov_b32_e32 v22, 0
	v_mov_b32_e32 v23, 0
	s_mov_b32 s12, exec_lo
	v_cmpx_ne_u32_e32 0, v24
	s_cbranch_execz .LBB1_84
; %bb.81:                               ;   in Loop: Header=BB1_31 Depth=1
	v_mov_b32_e32 v22, 0
	v_mov_b32_e32 v23, 0
	s_mov_b64 s[10:11], 0
	s_mov_b32 s13, 0
	.p2align	6
.LBB1_82:                               ;   Parent Loop BB1_31 Depth=1
                                        ; =>  This Inner Loop Header: Depth=2
	buffer_load_ubyte v25, v8, s[0:3], 0 offen
	v_mov_b32_e32 v26, s15
	v_add_nc_u32_e32 v24, -1, v24
	v_add_nc_u32_e32 v8, 1, v8
	v_cmp_eq_u32_e64 s4, 0, v24
	s_waitcnt vmcnt(0)
	v_and_b32_e32 v25, 0xffff, v25
	v_lshlrev_b64 v[25:26], s10, v[25:26]
	s_add_u32 s10, s10, 8
	s_addc_u32 s11, s11, 0
	s_or_b32 s13, s4, s13
	v_or_b32_e32 v23, v26, v23
	v_or_b32_e32 v22, v25, v22
	s_andn2_b32 exec_lo, exec_lo, s13
	s_cbranch_execnz .LBB1_82
; %bb.83:                               ;   in Loop: Header=BB1_31 Depth=1
	s_or_b32 exec_lo, exec_lo, s13
.LBB1_84:                               ;   in Loop: Header=BB1_31 Depth=1
	s_or_b32 exec_lo, exec_lo, s12
                                        ; implicit-def: $vgpr8
.LBB1_85:                               ;   in Loop: Header=BB1_31 Depth=1
	s_andn2_saveexec_b32 s4, s5
	s_cbranch_execz .LBB1_87
; %bb.86:                               ;   in Loop: Header=BB1_31 Depth=1
	s_clause 0x1
	buffer_load_dword v22, v8, s[0:3], 0 offen
	buffer_load_dword v23, v8, s[0:3], 0 offen offset:4
.LBB1_87:                               ;   in Loop: Header=BB1_31 Depth=1
	s_or_b32 exec_lo, exec_lo, s4
	v_readfirstlane_b32 s4, v32
	v_mov_b32_e32 v30, 0
	v_mov_b32_e32 v31, 0
	v_cmp_eq_u32_e64 s4, s4, v32
	s_and_saveexec_b32 s10, s4
	s_cbranch_execz .LBB1_93
; %bb.88:                               ;   in Loop: Header=BB1_31 Depth=1
	global_load_dwordx2 v[26:27], v9, s[6:7] offset:24 glc dlc
	s_waitcnt vmcnt(0)
	buffer_gl1_inv
	buffer_gl0_inv
	s_clause 0x1
	global_load_dwordx2 v[24:25], v9, s[6:7] offset:40
	global_load_dwordx2 v[30:31], v9, s[6:7]
	s_mov_b32 s11, exec_lo
	s_waitcnt vmcnt(1)
	v_and_b32_e32 v8, v25, v27
	v_and_b32_e32 v24, v24, v26
	v_mul_lo_u32 v8, v8, 24
	v_mul_hi_u32 v25, v24, 24
	v_mul_lo_u32 v24, v24, 24
	v_add_nc_u32_e32 v8, v25, v8
	s_waitcnt vmcnt(0)
	v_add_co_u32 v24, s5, v30, v24
	v_add_co_ci_u32_e64 v25, null, v31, v8, s5
	global_load_dwordx2 v[24:25], v[24:25], off glc dlc
	s_waitcnt vmcnt(0)
	global_atomic_cmpswap_x2 v[30:31], v9, v[24:27], s[6:7] offset:24 glc
	s_waitcnt vmcnt(0)
	buffer_gl1_inv
	buffer_gl0_inv
	v_cmpx_ne_u64_e64 v[30:31], v[26:27]
	s_cbranch_execz .LBB1_92
; %bb.89:                               ;   in Loop: Header=BB1_31 Depth=1
	s_mov_b32 s12, 0
	.p2align	6
.LBB1_90:                               ;   Parent Loop BB1_31 Depth=1
                                        ; =>  This Inner Loop Header: Depth=2
	s_sleep 1
	s_clause 0x1
	global_load_dwordx2 v[24:25], v9, s[6:7] offset:40
	global_load_dwordx2 v[37:38], v9, s[6:7]
	v_mov_b32_e32 v26, v30
	v_mov_b32_e32 v27, v31
	s_waitcnt vmcnt(1)
	v_and_b32_e32 v8, v24, v26
	v_and_b32_e32 v24, v25, v27
	s_waitcnt vmcnt(0)
	v_mad_u64_u32 v[30:31], null, v8, 24, v[37:38]
	v_mov_b32_e32 v8, v31
	v_mad_u64_u32 v[24:25], null, v24, 24, v[8:9]
	v_mov_b32_e32 v31, v24
	global_load_dwordx2 v[24:25], v[30:31], off glc dlc
	s_waitcnt vmcnt(0)
	global_atomic_cmpswap_x2 v[30:31], v9, v[24:27], s[6:7] offset:24 glc
	s_waitcnt vmcnt(0)
	buffer_gl1_inv
	buffer_gl0_inv
	v_cmp_eq_u64_e64 s5, v[30:31], v[26:27]
	s_or_b32 s12, s5, s12
	s_andn2_b32 exec_lo, exec_lo, s12
	s_cbranch_execnz .LBB1_90
; %bb.91:                               ;   in Loop: Header=BB1_31 Depth=1
	s_or_b32 exec_lo, exec_lo, s12
.LBB1_92:                               ;   in Loop: Header=BB1_31 Depth=1
	s_or_b32 exec_lo, exec_lo, s11
.LBB1_93:                               ;   in Loop: Header=BB1_31 Depth=1
	s_or_b32 exec_lo, exec_lo, s10
	s_clause 0x1
	global_load_dwordx2 v[37:38], v9, s[6:7] offset:40
	global_load_dwordx4 v[24:27], v9, s[6:7]
	v_readfirstlane_b32 s11, v31
	v_readfirstlane_b32 s10, v30
	s_mov_b32 s16, exec_lo
	s_waitcnt vmcnt(1)
	v_readfirstlane_b32 s12, v37
	v_readfirstlane_b32 s13, v38
	s_and_b64 s[12:13], s[12:13], s[10:11]
	s_mul_i32 s5, s13, 24
	s_mul_hi_u32 s17, s12, 24
	s_mul_i32 s18, s12, 24
	s_add_i32 s17, s17, s5
	s_waitcnt vmcnt(0)
	v_add_co_u32 v30, s5, v24, s18
	v_add_co_ci_u32_e64 v31, null, s17, v25, s5
	s_and_saveexec_b32 s5, s4
	s_cbranch_execz .LBB1_95
; %bb.94:                               ;   in Loop: Header=BB1_31 Depth=1
	v_mov_b32_e32 v8, s16
	global_store_dwordx4 v[30:31], v[8:11], off offset:8
.LBB1_95:                               ;   in Loop: Header=BB1_31 Depth=1
	s_or_b32 exec_lo, exec_lo, s5
	v_cmp_gt_u64_e64 s5, 57, v[28:29]
	v_and_b32_e32 v0, 0xffffff1f, v0
	s_lshl_b64 s[12:13], s[12:13], 12
	v_cndmask_b32_e64 v8, 0, v34, s5
	v_add_co_u32 v37, s5, v26, s12
	v_add_co_ci_u32_e64 v27, null, s13, v27, s5
	v_lshl_add_u32 v26, v36, 2, 28
	v_or_b32_e32 v0, v0, v8
	v_readfirstlane_b32 s12, v37
	v_readfirstlane_b32 s13, v27
	v_and_or_b32 v0, 0x1e0, v26, v0
	v_cndmask_b32_e32 v26, 0, v29, vcc_lo
	global_store_dwordx4 v33, v[12:15], s[12:13] offset:16
	global_store_dwordx4 v33, v[0:3], s[12:13]
	global_store_dwordx4 v33, v[16:19], s[12:13] offset:32
	global_store_dwordx4 v33, v[20:23], s[12:13] offset:48
	s_and_saveexec_b32 s5, s4
	s_cbranch_execz .LBB1_103
; %bb.96:                               ;   in Loop: Header=BB1_31 Depth=1
	s_clause 0x1
	global_load_dwordx2 v[16:17], v9, s[6:7] offset:32 glc dlc
	global_load_dwordx2 v[0:1], v9, s[6:7] offset:40
	v_mov_b32_e32 v14, s10
	v_mov_b32_e32 v15, s11
	s_waitcnt vmcnt(0)
	v_readfirstlane_b32 s12, v0
	v_readfirstlane_b32 s13, v1
	s_and_b64 s[12:13], s[12:13], s[10:11]
	s_mul_i32 s13, s13, 24
	s_mul_hi_u32 s16, s12, 24
	s_mul_i32 s12, s12, 24
	s_add_i32 s16, s16, s13
	v_add_co_u32 v12, vcc_lo, v24, s12
	v_add_co_ci_u32_e64 v13, null, s16, v25, vcc_lo
	s_mov_b32 s12, exec_lo
	global_store_dwordx2 v[12:13], v[16:17], off
	s_waitcnt_vscnt null, 0x0
	global_atomic_cmpswap_x2 v[2:3], v9, v[14:17], s[6:7] offset:32 glc
	s_waitcnt vmcnt(0)
	v_cmpx_ne_u64_e64 v[2:3], v[16:17]
	s_cbranch_execz .LBB1_99
; %bb.97:                               ;   in Loop: Header=BB1_31 Depth=1
	s_mov_b32 s13, 0
.LBB1_98:                               ;   Parent Loop BB1_31 Depth=1
                                        ; =>  This Inner Loop Header: Depth=2
	v_mov_b32_e32 v0, s10
	v_mov_b32_e32 v1, s11
	s_sleep 1
	global_store_dwordx2 v[12:13], v[2:3], off
	s_waitcnt_vscnt null, 0x0
	global_atomic_cmpswap_x2 v[0:1], v9, v[0:3], s[6:7] offset:32 glc
	s_waitcnt vmcnt(0)
	v_cmp_eq_u64_e32 vcc_lo, v[0:1], v[2:3]
	v_mov_b32_e32 v3, v1
	v_mov_b32_e32 v2, v0
	s_or_b32 s13, vcc_lo, s13
	s_andn2_b32 exec_lo, exec_lo, s13
	s_cbranch_execnz .LBB1_98
.LBB1_99:                               ;   in Loop: Header=BB1_31 Depth=1
	s_or_b32 exec_lo, exec_lo, s12
	global_load_dwordx2 v[0:1], v9, s[6:7] offset:16
	s_mov_b32 s13, exec_lo
	s_mov_b32 s12, exec_lo
	v_mbcnt_lo_u32_b32 v2, s13, 0
	v_cmpx_eq_u32_e32 0, v2
	s_cbranch_execz .LBB1_101
; %bb.100:                              ;   in Loop: Header=BB1_31 Depth=1
	s_bcnt1_i32_b32 s13, s13
	v_mov_b32_e32 v8, s13
	s_waitcnt vmcnt(0)
	global_atomic_add_x2 v[0:1], v[8:9], off offset:8
.LBB1_101:                              ;   in Loop: Header=BB1_31 Depth=1
	s_or_b32 exec_lo, exec_lo, s12
	s_waitcnt vmcnt(0)
	global_load_dwordx2 v[2:3], v[0:1], off offset:16
	s_waitcnt vmcnt(0)
	v_cmp_eq_u64_e32 vcc_lo, 0, v[2:3]
	s_cbranch_vccnz .LBB1_103
; %bb.102:                              ;   in Loop: Header=BB1_31 Depth=1
	global_load_dword v8, v[0:1], off offset:24
	s_waitcnt vmcnt(0)
	v_readfirstlane_b32 s12, v8
	s_waitcnt_vscnt null, 0x0
	global_store_dwordx2 v[2:3], v[8:9], off
	s_and_b32 m0, s12, 0x7fffff
	s_sendmsg sendmsg(MSG_INTERRUPT)
.LBB1_103:                              ;   in Loop: Header=BB1_31 Depth=1
	s_or_b32 exec_lo, exec_lo, s5
	v_add_co_u32 v0, vcc_lo, v37, v33
	v_add_co_ci_u32_e64 v1, null, 0, v27, vcc_lo
	s_branch .LBB1_107
	.p2align	6
.LBB1_104:                              ;   in Loop: Header=BB1_107 Depth=2
	s_or_b32 exec_lo, exec_lo, s5
	v_readfirstlane_b32 s5, v2
	s_cmp_eq_u32 s5, 0
	s_cbranch_scc1 .LBB1_106
; %bb.105:                              ;   in Loop: Header=BB1_107 Depth=2
	s_sleep 1
	s_cbranch_execnz .LBB1_107
	s_branch .LBB1_109
	.p2align	6
.LBB1_106:                              ;   in Loop: Header=BB1_31 Depth=1
	s_branch .LBB1_109
.LBB1_107:                              ;   Parent Loop BB1_31 Depth=1
                                        ; =>  This Inner Loop Header: Depth=2
	v_mov_b32_e32 v2, 1
	s_and_saveexec_b32 s5, s4
	s_cbranch_execz .LBB1_104
; %bb.108:                              ;   in Loop: Header=BB1_107 Depth=2
	global_load_dword v2, v[30:31], off offset:20 glc dlc
	s_waitcnt vmcnt(0)
	buffer_gl1_inv
	buffer_gl0_inv
	v_and_b32_e32 v2, 1, v2
	s_branch .LBB1_104
.LBB1_109:                              ;   in Loop: Header=BB1_31 Depth=1
	global_load_dwordx2 v[0:1], v[0:1], off
	s_and_saveexec_b32 s12, s4
	s_cbranch_execz .LBB1_30
; %bb.110:                              ;   in Loop: Header=BB1_31 Depth=1
	s_clause 0x2
	global_load_dwordx2 v[2:3], v9, s[6:7] offset:40
	global_load_dwordx2 v[16:17], v9, s[6:7] offset:24 glc dlc
	global_load_dwordx2 v[12:13], v9, s[6:7]
	s_waitcnt vmcnt(2)
	v_readfirstlane_b32 s16, v2
	v_readfirstlane_b32 s17, v3
	s_add_u32 s13, s16, 1
	s_addc_u32 s18, s17, 0
	s_add_u32 s4, s13, s10
	s_addc_u32 s5, s18, s11
	s_cmp_eq_u64 s[4:5], 0
	s_cselect_b32 s5, s18, s5
	s_cselect_b32 s4, s13, s4
	v_mov_b32_e32 v15, s5
	s_and_b64 s[10:11], s[4:5], s[16:17]
	v_mov_b32_e32 v14, s4
	s_mul_i32 s11, s11, 24
	s_mul_hi_u32 s13, s10, 24
	s_mul_i32 s10, s10, 24
	s_add_i32 s13, s13, s11
	s_waitcnt vmcnt(0)
	v_add_co_u32 v2, vcc_lo, v12, s10
	v_add_co_ci_u32_e64 v3, null, s13, v13, vcc_lo
	global_store_dwordx2 v[2:3], v[16:17], off
	s_waitcnt_vscnt null, 0x0
	global_atomic_cmpswap_x2 v[14:15], v9, v[14:17], s[6:7] offset:24 glc
	s_waitcnt vmcnt(0)
	v_cmp_ne_u64_e32 vcc_lo, v[14:15], v[16:17]
	s_and_b32 exec_lo, exec_lo, vcc_lo
	s_cbranch_execz .LBB1_30
; %bb.111:                              ;   in Loop: Header=BB1_31 Depth=1
	s_mov_b32 s10, 0
.LBB1_112:                              ;   Parent Loop BB1_31 Depth=1
                                        ; =>  This Inner Loop Header: Depth=2
	v_mov_b32_e32 v12, s4
	v_mov_b32_e32 v13, s5
	s_sleep 1
	global_store_dwordx2 v[2:3], v[14:15], off
	s_waitcnt_vscnt null, 0x0
	global_atomic_cmpswap_x2 v[12:13], v9, v[12:15], s[6:7] offset:24 glc
	s_waitcnt vmcnt(0)
	v_cmp_eq_u64_e32 vcc_lo, v[12:13], v[14:15]
	v_mov_b32_e32 v15, v13
	v_mov_b32_e32 v14, v12
	s_or_b32 s10, vcc_lo, s10
	s_andn2_b32 exec_lo, exec_lo, s10
	s_cbranch_execnz .LBB1_112
	s_branch .LBB1_30
.LBB1_113:
                                        ; implicit-def: $vgpr0_vgpr1
	s_cbranch_execnz .LBB1_115
	s_branch .LBB1_142
.LBB1_114:
	s_or_b32 exec_lo, exec_lo, s14
	s_branch .LBB1_142
.LBB1_115:
	v_readfirstlane_b32 s4, v32
	v_mov_b32_e32 v9, 0
	v_mov_b32_e32 v10, 0
	v_cmp_eq_u32_e64 s4, s4, v32
	s_and_saveexec_b32 s5, s4
	s_cbranch_execz .LBB1_121
; %bb.116:
	s_waitcnt vmcnt(0)
	v_mov_b32_e32 v0, 0
	s_mov_b32 s10, exec_lo
	global_load_dwordx2 v[11:12], v0, s[6:7] offset:24 glc dlc
	s_waitcnt vmcnt(0)
	buffer_gl1_inv
	buffer_gl0_inv
	s_clause 0x1
	global_load_dwordx2 v[1:2], v0, s[6:7] offset:40
	global_load_dwordx2 v[8:9], v0, s[6:7]
	s_waitcnt vmcnt(1)
	v_and_b32_e32 v2, v2, v12
	v_and_b32_e32 v1, v1, v11
	v_mul_lo_u32 v2, v2, 24
	v_mul_hi_u32 v3, v1, 24
	v_mul_lo_u32 v1, v1, 24
	v_add_nc_u32_e32 v2, v3, v2
	s_waitcnt vmcnt(0)
	v_add_co_u32 v1, vcc_lo, v8, v1
	v_add_co_ci_u32_e64 v2, null, v9, v2, vcc_lo
	global_load_dwordx2 v[9:10], v[1:2], off glc dlc
	s_waitcnt vmcnt(0)
	global_atomic_cmpswap_x2 v[9:10], v0, v[9:12], s[6:7] offset:24 glc
	s_waitcnt vmcnt(0)
	buffer_gl1_inv
	buffer_gl0_inv
	v_cmpx_ne_u64_e64 v[9:10], v[11:12]
	s_cbranch_execz .LBB1_120
; %bb.117:
	s_mov_b32 s11, 0
	.p2align	6
.LBB1_118:                              ; =>This Inner Loop Header: Depth=1
	s_sleep 1
	s_clause 0x1
	global_load_dwordx2 v[1:2], v0, s[6:7] offset:40
	global_load_dwordx2 v[13:14], v0, s[6:7]
	v_mov_b32_e32 v12, v10
	v_mov_b32_e32 v11, v9
	s_waitcnt vmcnt(1)
	v_and_b32_e32 v1, v1, v11
	v_and_b32_e32 v2, v2, v12
	s_waitcnt vmcnt(0)
	v_mad_u64_u32 v[8:9], null, v1, 24, v[13:14]
	v_mov_b32_e32 v1, v9
	v_mad_u64_u32 v[1:2], null, v2, 24, v[1:2]
	v_mov_b32_e32 v9, v1
	global_load_dwordx2 v[9:10], v[8:9], off glc dlc
	s_waitcnt vmcnt(0)
	global_atomic_cmpswap_x2 v[9:10], v0, v[9:12], s[6:7] offset:24 glc
	s_waitcnt vmcnt(0)
	buffer_gl1_inv
	buffer_gl0_inv
	v_cmp_eq_u64_e32 vcc_lo, v[9:10], v[11:12]
	s_or_b32 s11, vcc_lo, s11
	s_andn2_b32 exec_lo, exec_lo, s11
	s_cbranch_execnz .LBB1_118
; %bb.119:
	s_or_b32 exec_lo, exec_lo, s11
.LBB1_120:
	s_or_b32 exec_lo, exec_lo, s10
.LBB1_121:
	s_or_b32 exec_lo, exec_lo, s5
	v_mov_b32_e32 v8, 0
	v_readfirstlane_b32 s11, v10
	v_readfirstlane_b32 s10, v9
	s_mov_b32 s5, exec_lo
	s_clause 0x1
	global_load_dwordx2 v[11:12], v8, s[6:7] offset:40
	global_load_dwordx4 v[0:3], v8, s[6:7]
	s_waitcnt vmcnt(1)
	v_readfirstlane_b32 s12, v11
	v_readfirstlane_b32 s13, v12
	s_and_b64 s[12:13], s[12:13], s[10:11]
	s_mul_i32 s14, s13, 24
	s_mul_hi_u32 s15, s12, 24
	s_mul_i32 s16, s12, 24
	s_add_i32 s15, s15, s14
	s_waitcnt vmcnt(0)
	v_add_co_u32 v10, vcc_lo, v0, s16
	v_add_co_ci_u32_e64 v11, null, s15, v1, vcc_lo
	s_and_saveexec_b32 s14, s4
	s_cbranch_execz .LBB1_123
; %bb.122:
	v_mov_b32_e32 v12, s5
	v_mov_b32_e32 v13, v8
	;; [unrolled: 1-line block ×4, first 2 shown]
	global_store_dwordx4 v[10:11], v[12:15], off offset:8
.LBB1_123:
	s_or_b32 exec_lo, exec_lo, s14
	s_lshl_b64 s[12:13], s[12:13], 12
	v_and_or_b32 v6, 0xffffff1f, v6, 32
	v_add_co_u32 v2, vcc_lo, v2, s12
	v_add_co_ci_u32_e64 v3, null, s13, v3, vcc_lo
	s_mov_b32 s12, 0
	v_add_co_u32 v12, vcc_lo, v2, v33
	s_mov_b32 s15, s12
	s_mov_b32 s13, s12
	;; [unrolled: 1-line block ×3, first 2 shown]
	v_mov_b32_e32 v9, v8
	v_readfirstlane_b32 s16, v2
	v_readfirstlane_b32 s17, v3
	v_mov_b32_e32 v17, s15
	v_add_co_ci_u32_e64 v13, null, 0, v3, vcc_lo
	v_mov_b32_e32 v16, s14
	v_mov_b32_e32 v15, s13
	;; [unrolled: 1-line block ×3, first 2 shown]
	global_store_dwordx4 v33, v[6:9], s[16:17]
	global_store_dwordx4 v33, v[14:17], s[16:17] offset:16
	global_store_dwordx4 v33, v[14:17], s[16:17] offset:32
	;; [unrolled: 1-line block ×3, first 2 shown]
	s_and_saveexec_b32 s5, s4
	s_cbranch_execz .LBB1_131
; %bb.124:
	v_mov_b32_e32 v8, 0
	v_mov_b32_e32 v14, s10
	;; [unrolled: 1-line block ×3, first 2 shown]
	s_clause 0x1
	global_load_dwordx2 v[16:17], v8, s[6:7] offset:32 glc dlc
	global_load_dwordx2 v[2:3], v8, s[6:7] offset:40
	s_waitcnt vmcnt(0)
	v_readfirstlane_b32 s12, v2
	v_readfirstlane_b32 s13, v3
	s_and_b64 s[12:13], s[12:13], s[10:11]
	s_mul_i32 s13, s13, 24
	s_mul_hi_u32 s14, s12, 24
	s_mul_i32 s12, s12, 24
	s_add_i32 s14, s14, s13
	v_add_co_u32 v6, vcc_lo, v0, s12
	v_add_co_ci_u32_e64 v7, null, s14, v1, vcc_lo
	s_mov_b32 s12, exec_lo
	global_store_dwordx2 v[6:7], v[16:17], off
	s_waitcnt_vscnt null, 0x0
	global_atomic_cmpswap_x2 v[2:3], v8, v[14:17], s[6:7] offset:32 glc
	s_waitcnt vmcnt(0)
	v_cmpx_ne_u64_e64 v[2:3], v[16:17]
	s_cbranch_execz .LBB1_127
; %bb.125:
	s_mov_b32 s13, 0
.LBB1_126:                              ; =>This Inner Loop Header: Depth=1
	v_mov_b32_e32 v0, s10
	v_mov_b32_e32 v1, s11
	s_sleep 1
	global_store_dwordx2 v[6:7], v[2:3], off
	s_waitcnt_vscnt null, 0x0
	global_atomic_cmpswap_x2 v[0:1], v8, v[0:3], s[6:7] offset:32 glc
	s_waitcnt vmcnt(0)
	v_cmp_eq_u64_e32 vcc_lo, v[0:1], v[2:3]
	v_mov_b32_e32 v3, v1
	v_mov_b32_e32 v2, v0
	s_or_b32 s13, vcc_lo, s13
	s_andn2_b32 exec_lo, exec_lo, s13
	s_cbranch_execnz .LBB1_126
.LBB1_127:
	s_or_b32 exec_lo, exec_lo, s12
	v_mov_b32_e32 v3, 0
	s_mov_b32 s13, exec_lo
	s_mov_b32 s12, exec_lo
	v_mbcnt_lo_u32_b32 v2, s13, 0
	global_load_dwordx2 v[0:1], v3, s[6:7] offset:16
	v_cmpx_eq_u32_e32 0, v2
	s_cbranch_execz .LBB1_129
; %bb.128:
	s_bcnt1_i32_b32 s13, s13
	v_mov_b32_e32 v2, s13
	s_waitcnt vmcnt(0)
	global_atomic_add_x2 v[0:1], v[2:3], off offset:8
.LBB1_129:
	s_or_b32 exec_lo, exec_lo, s12
	s_waitcnt vmcnt(0)
	global_load_dwordx2 v[2:3], v[0:1], off offset:16
	s_waitcnt vmcnt(0)
	v_cmp_eq_u64_e32 vcc_lo, 0, v[2:3]
	s_cbranch_vccnz .LBB1_131
; %bb.130:
	global_load_dword v0, v[0:1], off offset:24
	v_mov_b32_e32 v1, 0
	s_waitcnt vmcnt(0)
	v_readfirstlane_b32 s12, v0
	s_waitcnt_vscnt null, 0x0
	global_store_dwordx2 v[2:3], v[0:1], off
	s_and_b32 m0, s12, 0x7fffff
	s_sendmsg sendmsg(MSG_INTERRUPT)
.LBB1_131:
	s_or_b32 exec_lo, exec_lo, s5
	s_branch .LBB1_135
	.p2align	6
.LBB1_132:                              ;   in Loop: Header=BB1_135 Depth=1
	s_or_b32 exec_lo, exec_lo, s5
	v_readfirstlane_b32 s5, v0
	s_cmp_eq_u32 s5, 0
	s_cbranch_scc1 .LBB1_134
; %bb.133:                              ;   in Loop: Header=BB1_135 Depth=1
	s_sleep 1
	s_cbranch_execnz .LBB1_135
	s_branch .LBB1_137
	.p2align	6
.LBB1_134:
	s_branch .LBB1_137
.LBB1_135:                              ; =>This Inner Loop Header: Depth=1
	v_mov_b32_e32 v0, 1
	s_and_saveexec_b32 s5, s4
	s_cbranch_execz .LBB1_132
; %bb.136:                              ;   in Loop: Header=BB1_135 Depth=1
	global_load_dword v0, v[10:11], off offset:20 glc dlc
	s_waitcnt vmcnt(0)
	buffer_gl1_inv
	buffer_gl0_inv
	v_and_b32_e32 v0, 1, v0
	s_branch .LBB1_132
.LBB1_137:
	global_load_dwordx2 v[0:1], v[12:13], off
	s_and_saveexec_b32 s12, s4
	s_cbranch_execz .LBB1_141
; %bb.138:
	v_mov_b32_e32 v10, 0
	s_clause 0x2
	global_load_dwordx2 v[2:3], v10, s[6:7] offset:40
	global_load_dwordx2 v[13:14], v10, s[6:7] offset:24 glc dlc
	global_load_dwordx2 v[6:7], v10, s[6:7]
	s_waitcnt vmcnt(2)
	v_readfirstlane_b32 s14, v2
	v_readfirstlane_b32 s15, v3
	s_add_u32 s13, s14, 1
	s_addc_u32 s16, s15, 0
	s_add_u32 s4, s13, s10
	s_addc_u32 s5, s16, s11
	s_cmp_eq_u64 s[4:5], 0
	s_cselect_b32 s5, s16, s5
	s_cselect_b32 s4, s13, s4
	v_mov_b32_e32 v12, s5
	s_and_b64 s[10:11], s[4:5], s[14:15]
	v_mov_b32_e32 v11, s4
	s_mul_i32 s11, s11, 24
	s_mul_hi_u32 s13, s10, 24
	s_mul_i32 s10, s10, 24
	s_add_i32 s13, s13, s11
	s_waitcnt vmcnt(0)
	v_add_co_u32 v2, vcc_lo, v6, s10
	v_add_co_ci_u32_e64 v3, null, s13, v7, vcc_lo
	global_store_dwordx2 v[2:3], v[13:14], off
	s_waitcnt_vscnt null, 0x0
	global_atomic_cmpswap_x2 v[8:9], v10, v[11:14], s[6:7] offset:24 glc
	s_waitcnt vmcnt(0)
	v_cmp_ne_u64_e32 vcc_lo, v[8:9], v[13:14]
	s_and_b32 exec_lo, exec_lo, vcc_lo
	s_cbranch_execz .LBB1_141
; %bb.139:
	s_mov_b32 s10, 0
.LBB1_140:                              ; =>This Inner Loop Header: Depth=1
	v_mov_b32_e32 v6, s4
	v_mov_b32_e32 v7, s5
	s_sleep 1
	global_store_dwordx2 v[2:3], v[8:9], off
	s_waitcnt_vscnt null, 0x0
	global_atomic_cmpswap_x2 v[6:7], v10, v[6:9], s[6:7] offset:24 glc
	s_waitcnt vmcnt(0)
	v_cmp_eq_u64_e32 vcc_lo, v[6:7], v[8:9]
	v_mov_b32_e32 v9, v7
	v_mov_b32_e32 v8, v6
	s_or_b32 s10, vcc_lo, s10
	s_andn2_b32 exec_lo, exec_lo, s10
	s_cbranch_execnz .LBB1_140
.LBB1_141:
	s_or_b32 exec_lo, exec_lo, s12
.LBB1_142:
	s_getpc_b64 s[10:11]
	s_add_u32 s10, s10, .str.4@rel32@lo+4
	s_addc_u32 s11, s11, .str.4@rel32@hi+12
	s_cmp_lg_u64 s[10:11], 0
	s_cbranch_scc0 .LBB1_220
; %bb.143:
	s_getpc_b64 s[4:5]
	s_add_u32 s4, s4, .str.4@rel32@lo+80
	s_addc_u32 s5, s5, .str.4@rel32@hi+88
	s_waitcnt vmcnt(0)
	v_and_b32_e32 v30, 2, v0
	v_mov_b32_e32 v11, 0
	v_and_b32_e32 v6, -3, v0
	v_mov_b32_e32 v7, v1
	v_mov_b32_e32 v12, 2
	;; [unrolled: 1-line block ×3, first 2 shown]
	s_sub_i32 s12, s4, s10
	s_ashr_i32 s13, s12, 31
	s_branch .LBB1_145
.LBB1_144:                              ;   in Loop: Header=BB1_145 Depth=1
	s_or_b32 exec_lo, exec_lo, s18
	s_sub_u32 s12, s12, s14
	s_subb_u32 s13, s13, s15
	s_add_u32 s10, s10, s14
	s_addc_u32 s11, s11, s15
	s_cmp_lg_u64 s[12:13], 0
	s_cbranch_scc0 .LBB1_221
.LBB1_145:                              ; =>This Loop Header: Depth=1
                                        ;     Child Loop BB1_148 Depth 2
                                        ;     Child Loop BB1_155 Depth 2
                                        ;     Child Loop BB1_162 Depth 2
                                        ;     Child Loop BB1_169 Depth 2
                                        ;     Child Loop BB1_176 Depth 2
                                        ;     Child Loop BB1_183 Depth 2
                                        ;     Child Loop BB1_190 Depth 2
                                        ;     Child Loop BB1_197 Depth 2
                                        ;     Child Loop BB1_205 Depth 2
                                        ;     Child Loop BB1_214 Depth 2
                                        ;     Child Loop BB1_219 Depth 2
	v_cmp_lt_u64_e64 s4, s[12:13], 56
	v_cmp_gt_u64_e64 s16, s[12:13], 7
	s_and_b32 s4, s4, exec_lo
	s_cselect_b32 s15, s13, 0
	s_cselect_b32 s14, s12, 56
	s_add_u32 s4, s10, 8
	s_addc_u32 s5, s11, 0
	s_and_b32 vcc_lo, exec_lo, s16
	s_cbranch_vccnz .LBB1_150
; %bb.146:                              ;   in Loop: Header=BB1_145 Depth=1
	v_mov_b32_e32 v8, 0
	v_mov_b32_e32 v9, 0
	s_cmp_eq_u64 s[12:13], 0
	s_cbranch_scc1 .LBB1_149
; %bb.147:                              ;   in Loop: Header=BB1_145 Depth=1
	s_lshl_b64 s[4:5], s[14:15], 3
	s_mov_b64 s[16:17], 0
	s_mov_b64 s[18:19], s[10:11]
.LBB1_148:                              ;   Parent Loop BB1_145 Depth=1
                                        ; =>  This Inner Loop Header: Depth=2
	global_load_ubyte v2, v11, s[18:19]
	s_waitcnt vmcnt(0)
	v_and_b32_e32 v10, 0xffff, v2
	v_lshlrev_b64 v[2:3], s16, v[10:11]
	s_add_u32 s16, s16, 8
	s_addc_u32 s17, s17, 0
	s_add_u32 s18, s18, 1
	s_addc_u32 s19, s19, 0
	s_cmp_lg_u32 s4, s16
	v_or_b32_e32 v8, v2, v8
	v_or_b32_e32 v9, v3, v9
	s_cbranch_scc1 .LBB1_148
.LBB1_149:                              ;   in Loop: Header=BB1_145 Depth=1
	s_mov_b64 s[4:5], s[10:11]
	s_mov_b32 s20, 0
	s_cbranch_execz .LBB1_151
	s_branch .LBB1_152
.LBB1_150:                              ;   in Loop: Header=BB1_145 Depth=1
	s_mov_b32 s20, 0
.LBB1_151:                              ;   in Loop: Header=BB1_145 Depth=1
	global_load_dwordx2 v[8:9], v11, s[10:11]
	s_add_i32 s20, s14, -8
.LBB1_152:                              ;   in Loop: Header=BB1_145 Depth=1
	s_add_u32 s16, s4, 8
	s_addc_u32 s17, s5, 0
	s_cmp_gt_u32 s20, 7
	s_cbranch_scc1 .LBB1_157
; %bb.153:                              ;   in Loop: Header=BB1_145 Depth=1
	v_mov_b32_e32 v14, 0
	v_mov_b32_e32 v15, 0
	s_cmp_eq_u32 s20, 0
	s_cbranch_scc1 .LBB1_156
; %bb.154:                              ;   in Loop: Header=BB1_145 Depth=1
	s_mov_b64 s[16:17], 0
	s_mov_b64 s[18:19], 0
.LBB1_155:                              ;   Parent Loop BB1_145 Depth=1
                                        ; =>  This Inner Loop Header: Depth=2
	s_add_u32 s22, s4, s18
	s_addc_u32 s23, s5, s19
	s_add_u32 s18, s18, 1
	global_load_ubyte v2, v11, s[22:23]
	s_addc_u32 s19, s19, 0
	s_waitcnt vmcnt(0)
	v_and_b32_e32 v10, 0xffff, v2
	v_lshlrev_b64 v[2:3], s16, v[10:11]
	s_add_u32 s16, s16, 8
	s_addc_u32 s17, s17, 0
	s_cmp_lg_u32 s20, s18
	v_or_b32_e32 v14, v2, v14
	v_or_b32_e32 v15, v3, v15
	s_cbranch_scc1 .LBB1_155
.LBB1_156:                              ;   in Loop: Header=BB1_145 Depth=1
	s_mov_b64 s[16:17], s[4:5]
	s_mov_b32 s21, 0
	s_cbranch_execz .LBB1_158
	s_branch .LBB1_159
.LBB1_157:                              ;   in Loop: Header=BB1_145 Depth=1
                                        ; implicit-def: $vgpr14_vgpr15
	s_mov_b32 s21, 0
.LBB1_158:                              ;   in Loop: Header=BB1_145 Depth=1
	global_load_dwordx2 v[14:15], v11, s[4:5]
	s_add_i32 s21, s20, -8
.LBB1_159:                              ;   in Loop: Header=BB1_145 Depth=1
	s_add_u32 s4, s16, 8
	s_addc_u32 s5, s17, 0
	s_cmp_gt_u32 s21, 7
	s_cbranch_scc1 .LBB1_164
; %bb.160:                              ;   in Loop: Header=BB1_145 Depth=1
	v_mov_b32_e32 v16, 0
	v_mov_b32_e32 v17, 0
	s_cmp_eq_u32 s21, 0
	s_cbranch_scc1 .LBB1_163
; %bb.161:                              ;   in Loop: Header=BB1_145 Depth=1
	s_mov_b64 s[4:5], 0
	s_mov_b64 s[18:19], 0
.LBB1_162:                              ;   Parent Loop BB1_145 Depth=1
                                        ; =>  This Inner Loop Header: Depth=2
	s_add_u32 s22, s16, s18
	s_addc_u32 s23, s17, s19
	s_add_u32 s18, s18, 1
	global_load_ubyte v2, v11, s[22:23]
	s_addc_u32 s19, s19, 0
	s_waitcnt vmcnt(0)
	v_and_b32_e32 v10, 0xffff, v2
	v_lshlrev_b64 v[2:3], s4, v[10:11]
	s_add_u32 s4, s4, 8
	s_addc_u32 s5, s5, 0
	s_cmp_lg_u32 s21, s18
	v_or_b32_e32 v16, v2, v16
	v_or_b32_e32 v17, v3, v17
	s_cbranch_scc1 .LBB1_162
.LBB1_163:                              ;   in Loop: Header=BB1_145 Depth=1
	s_mov_b64 s[4:5], s[16:17]
	s_mov_b32 s20, 0
	s_cbranch_execz .LBB1_165
	s_branch .LBB1_166
.LBB1_164:                              ;   in Loop: Header=BB1_145 Depth=1
	s_mov_b32 s20, 0
.LBB1_165:                              ;   in Loop: Header=BB1_145 Depth=1
	global_load_dwordx2 v[16:17], v11, s[16:17]
	s_add_i32 s20, s21, -8
.LBB1_166:                              ;   in Loop: Header=BB1_145 Depth=1
	s_add_u32 s16, s4, 8
	s_addc_u32 s17, s5, 0
	s_cmp_gt_u32 s20, 7
	s_cbranch_scc1 .LBB1_171
; %bb.167:                              ;   in Loop: Header=BB1_145 Depth=1
	v_mov_b32_e32 v18, 0
	v_mov_b32_e32 v19, 0
	s_cmp_eq_u32 s20, 0
	s_cbranch_scc1 .LBB1_170
; %bb.168:                              ;   in Loop: Header=BB1_145 Depth=1
	s_mov_b64 s[16:17], 0
	s_mov_b64 s[18:19], 0
.LBB1_169:                              ;   Parent Loop BB1_145 Depth=1
                                        ; =>  This Inner Loop Header: Depth=2
	s_add_u32 s22, s4, s18
	s_addc_u32 s23, s5, s19
	s_add_u32 s18, s18, 1
	global_load_ubyte v2, v11, s[22:23]
	s_addc_u32 s19, s19, 0
	s_waitcnt vmcnt(0)
	v_and_b32_e32 v10, 0xffff, v2
	v_lshlrev_b64 v[2:3], s16, v[10:11]
	s_add_u32 s16, s16, 8
	s_addc_u32 s17, s17, 0
	s_cmp_lg_u32 s20, s18
	v_or_b32_e32 v18, v2, v18
	v_or_b32_e32 v19, v3, v19
	s_cbranch_scc1 .LBB1_169
.LBB1_170:                              ;   in Loop: Header=BB1_145 Depth=1
	s_mov_b64 s[16:17], s[4:5]
	s_mov_b32 s21, 0
	s_cbranch_execz .LBB1_172
	s_branch .LBB1_173
.LBB1_171:                              ;   in Loop: Header=BB1_145 Depth=1
                                        ; implicit-def: $vgpr18_vgpr19
	s_mov_b32 s21, 0
.LBB1_172:                              ;   in Loop: Header=BB1_145 Depth=1
	global_load_dwordx2 v[18:19], v11, s[4:5]
	s_add_i32 s21, s20, -8
.LBB1_173:                              ;   in Loop: Header=BB1_145 Depth=1
	s_add_u32 s4, s16, 8
	s_addc_u32 s5, s17, 0
	s_cmp_gt_u32 s21, 7
	s_cbranch_scc1 .LBB1_178
; %bb.174:                              ;   in Loop: Header=BB1_145 Depth=1
	v_mov_b32_e32 v20, 0
	v_mov_b32_e32 v21, 0
	s_cmp_eq_u32 s21, 0
	s_cbranch_scc1 .LBB1_177
; %bb.175:                              ;   in Loop: Header=BB1_145 Depth=1
	s_mov_b64 s[4:5], 0
	s_mov_b64 s[18:19], 0
.LBB1_176:                              ;   Parent Loop BB1_145 Depth=1
                                        ; =>  This Inner Loop Header: Depth=2
	s_add_u32 s22, s16, s18
	s_addc_u32 s23, s17, s19
	s_add_u32 s18, s18, 1
	global_load_ubyte v2, v11, s[22:23]
	s_addc_u32 s19, s19, 0
	s_waitcnt vmcnt(0)
	v_and_b32_e32 v10, 0xffff, v2
	v_lshlrev_b64 v[2:3], s4, v[10:11]
	s_add_u32 s4, s4, 8
	s_addc_u32 s5, s5, 0
	s_cmp_lg_u32 s21, s18
	v_or_b32_e32 v20, v2, v20
	v_or_b32_e32 v21, v3, v21
	s_cbranch_scc1 .LBB1_176
.LBB1_177:                              ;   in Loop: Header=BB1_145 Depth=1
	s_mov_b64 s[4:5], s[16:17]
	s_mov_b32 s20, 0
	s_cbranch_execz .LBB1_179
	s_branch .LBB1_180
.LBB1_178:                              ;   in Loop: Header=BB1_145 Depth=1
	s_mov_b32 s20, 0
.LBB1_179:                              ;   in Loop: Header=BB1_145 Depth=1
	global_load_dwordx2 v[20:21], v11, s[16:17]
	s_add_i32 s20, s21, -8
.LBB1_180:                              ;   in Loop: Header=BB1_145 Depth=1
	s_add_u32 s16, s4, 8
	s_addc_u32 s17, s5, 0
	s_cmp_gt_u32 s20, 7
	s_cbranch_scc1 .LBB1_185
; %bb.181:                              ;   in Loop: Header=BB1_145 Depth=1
	v_mov_b32_e32 v22, 0
	v_mov_b32_e32 v23, 0
	s_cmp_eq_u32 s20, 0
	s_cbranch_scc1 .LBB1_184
; %bb.182:                              ;   in Loop: Header=BB1_145 Depth=1
	s_mov_b64 s[16:17], 0
	s_mov_b64 s[18:19], 0
.LBB1_183:                              ;   Parent Loop BB1_145 Depth=1
                                        ; =>  This Inner Loop Header: Depth=2
	s_add_u32 s22, s4, s18
	s_addc_u32 s23, s5, s19
	s_add_u32 s18, s18, 1
	global_load_ubyte v2, v11, s[22:23]
	s_addc_u32 s19, s19, 0
	s_waitcnt vmcnt(0)
	v_and_b32_e32 v10, 0xffff, v2
	v_lshlrev_b64 v[2:3], s16, v[10:11]
	s_add_u32 s16, s16, 8
	s_addc_u32 s17, s17, 0
	s_cmp_lg_u32 s20, s18
	v_or_b32_e32 v22, v2, v22
	v_or_b32_e32 v23, v3, v23
	s_cbranch_scc1 .LBB1_183
.LBB1_184:                              ;   in Loop: Header=BB1_145 Depth=1
	s_mov_b64 s[16:17], s[4:5]
	s_mov_b32 s21, 0
	s_cbranch_execz .LBB1_186
	s_branch .LBB1_187
.LBB1_185:                              ;   in Loop: Header=BB1_145 Depth=1
                                        ; implicit-def: $vgpr22_vgpr23
	s_mov_b32 s21, 0
.LBB1_186:                              ;   in Loop: Header=BB1_145 Depth=1
	global_load_dwordx2 v[22:23], v11, s[4:5]
	s_add_i32 s21, s20, -8
.LBB1_187:                              ;   in Loop: Header=BB1_145 Depth=1
	s_cmp_gt_u32 s21, 7
	s_cbranch_scc1 .LBB1_192
; %bb.188:                              ;   in Loop: Header=BB1_145 Depth=1
	v_mov_b32_e32 v24, 0
	v_mov_b32_e32 v25, 0
	s_cmp_eq_u32 s21, 0
	s_cbranch_scc1 .LBB1_191
; %bb.189:                              ;   in Loop: Header=BB1_145 Depth=1
	s_mov_b64 s[4:5], 0
	s_mov_b64 s[18:19], s[16:17]
.LBB1_190:                              ;   Parent Loop BB1_145 Depth=1
                                        ; =>  This Inner Loop Header: Depth=2
	global_load_ubyte v2, v11, s[18:19]
	s_add_i32 s21, s21, -1
	s_waitcnt vmcnt(0)
	v_and_b32_e32 v10, 0xffff, v2
	v_lshlrev_b64 v[2:3], s4, v[10:11]
	s_add_u32 s4, s4, 8
	s_addc_u32 s5, s5, 0
	s_add_u32 s18, s18, 1
	s_addc_u32 s19, s19, 0
	s_cmp_lg_u32 s21, 0
	v_or_b32_e32 v24, v2, v24
	v_or_b32_e32 v25, v3, v25
	s_cbranch_scc1 .LBB1_190
.LBB1_191:                              ;   in Loop: Header=BB1_145 Depth=1
	s_cbranch_execz .LBB1_193
	s_branch .LBB1_194
.LBB1_192:                              ;   in Loop: Header=BB1_145 Depth=1
.LBB1_193:                              ;   in Loop: Header=BB1_145 Depth=1
	global_load_dwordx2 v[24:25], v11, s[16:17]
.LBB1_194:                              ;   in Loop: Header=BB1_145 Depth=1
	v_readfirstlane_b32 s4, v32
	v_mov_b32_e32 v2, 0
	v_mov_b32_e32 v3, 0
	v_cmp_eq_u32_e64 s4, s4, v32
	s_and_saveexec_b32 s5, s4
	s_cbranch_execz .LBB1_200
; %bb.195:                              ;   in Loop: Header=BB1_145 Depth=1
	global_load_dwordx2 v[28:29], v11, s[6:7] offset:24 glc dlc
	s_waitcnt vmcnt(0)
	buffer_gl1_inv
	buffer_gl0_inv
	s_clause 0x1
	global_load_dwordx2 v[2:3], v11, s[6:7] offset:40
	global_load_dwordx2 v[26:27], v11, s[6:7]
	s_mov_b32 s16, exec_lo
	s_waitcnt vmcnt(1)
	v_and_b32_e32 v3, v3, v29
	v_and_b32_e32 v2, v2, v28
	v_mul_lo_u32 v3, v3, 24
	v_mul_hi_u32 v10, v2, 24
	v_mul_lo_u32 v2, v2, 24
	v_add_nc_u32_e32 v3, v10, v3
	s_waitcnt vmcnt(0)
	v_add_co_u32 v2, vcc_lo, v26, v2
	v_add_co_ci_u32_e64 v3, null, v27, v3, vcc_lo
	global_load_dwordx2 v[26:27], v[2:3], off glc dlc
	s_waitcnt vmcnt(0)
	global_atomic_cmpswap_x2 v[2:3], v11, v[26:29], s[6:7] offset:24 glc
	s_waitcnt vmcnt(0)
	buffer_gl1_inv
	buffer_gl0_inv
	v_cmpx_ne_u64_e64 v[2:3], v[28:29]
	s_cbranch_execz .LBB1_199
; %bb.196:                              ;   in Loop: Header=BB1_145 Depth=1
	s_mov_b32 s17, 0
	.p2align	6
.LBB1_197:                              ;   Parent Loop BB1_145 Depth=1
                                        ; =>  This Inner Loop Header: Depth=2
	s_sleep 1
	s_clause 0x1
	global_load_dwordx2 v[26:27], v11, s[6:7] offset:40
	global_load_dwordx2 v[34:35], v11, s[6:7]
	v_mov_b32_e32 v29, v3
	v_mov_b32_e32 v28, v2
	s_waitcnt vmcnt(1)
	v_and_b32_e32 v2, v26, v28
	v_and_b32_e32 v10, v27, v29
	s_waitcnt vmcnt(0)
	v_mad_u64_u32 v[2:3], null, v2, 24, v[34:35]
	v_mad_u64_u32 v[26:27], null, v10, 24, v[3:4]
	v_mov_b32_e32 v3, v26
	global_load_dwordx2 v[26:27], v[2:3], off glc dlc
	s_waitcnt vmcnt(0)
	global_atomic_cmpswap_x2 v[2:3], v11, v[26:29], s[6:7] offset:24 glc
	s_waitcnt vmcnt(0)
	buffer_gl1_inv
	buffer_gl0_inv
	v_cmp_eq_u64_e32 vcc_lo, v[2:3], v[28:29]
	s_or_b32 s17, vcc_lo, s17
	s_andn2_b32 exec_lo, exec_lo, s17
	s_cbranch_execnz .LBB1_197
; %bb.198:                              ;   in Loop: Header=BB1_145 Depth=1
	s_or_b32 exec_lo, exec_lo, s17
.LBB1_199:                              ;   in Loop: Header=BB1_145 Depth=1
	s_or_b32 exec_lo, exec_lo, s16
.LBB1_200:                              ;   in Loop: Header=BB1_145 Depth=1
	s_or_b32 exec_lo, exec_lo, s5
	s_clause 0x1
	global_load_dwordx2 v[34:35], v11, s[6:7] offset:40
	global_load_dwordx4 v[26:29], v11, s[6:7]
	v_readfirstlane_b32 s17, v3
	v_readfirstlane_b32 s16, v2
	s_mov_b32 s5, exec_lo
	s_waitcnt vmcnt(1)
	v_readfirstlane_b32 s18, v34
	v_readfirstlane_b32 s19, v35
	s_and_b64 s[18:19], s[18:19], s[16:17]
	s_mul_i32 s20, s19, 24
	s_mul_hi_u32 s21, s18, 24
	s_mul_i32 s22, s18, 24
	s_add_i32 s21, s21, s20
	s_waitcnt vmcnt(0)
	v_add_co_u32 v2, vcc_lo, v26, s22
	v_add_co_ci_u32_e64 v3, null, s21, v27, vcc_lo
	s_and_saveexec_b32 s20, s4
	s_cbranch_execz .LBB1_202
; %bb.201:                              ;   in Loop: Header=BB1_145 Depth=1
	v_mov_b32_e32 v10, s5
	global_store_dwordx4 v[2:3], v[10:13], off offset:8
.LBB1_202:                              ;   in Loop: Header=BB1_145 Depth=1
	s_or_b32 exec_lo, exec_lo, s20
	v_cmp_lt_u64_e64 vcc_lo, s[12:13], 57
	s_lshl_b64 s[18:19], s[18:19], 12
	v_and_b32_e32 v6, 0xffffff1f, v6
	s_lshl_b32 s5, s14, 2
	s_add_i32 s5, s5, 28
	v_cndmask_b32_e32 v10, 0, v30, vcc_lo
	v_add_co_u32 v28, vcc_lo, v28, s18
	v_add_co_ci_u32_e64 v29, null, s19, v29, vcc_lo
	v_or_b32_e32 v6, v6, v10
	v_readfirstlane_b32 s18, v28
	v_readfirstlane_b32 s19, v29
	v_and_or_b32 v6, 0x1e0, s5, v6
	global_store_dwordx4 v33, v[14:17], s[18:19] offset:16
	global_store_dwordx4 v33, v[6:9], s[18:19]
	global_store_dwordx4 v33, v[18:21], s[18:19] offset:32
	global_store_dwordx4 v33, v[22:25], s[18:19] offset:48
	s_and_saveexec_b32 s5, s4
	s_cbranch_execz .LBB1_210
; %bb.203:                              ;   in Loop: Header=BB1_145 Depth=1
	s_clause 0x1
	global_load_dwordx2 v[18:19], v11, s[6:7] offset:32 glc dlc
	global_load_dwordx2 v[6:7], v11, s[6:7] offset:40
	v_mov_b32_e32 v16, s16
	v_mov_b32_e32 v17, s17
	s_waitcnt vmcnt(0)
	v_readfirstlane_b32 s18, v6
	v_readfirstlane_b32 s19, v7
	s_and_b64 s[18:19], s[18:19], s[16:17]
	s_mul_i32 s19, s19, 24
	s_mul_hi_u32 s20, s18, 24
	s_mul_i32 s18, s18, 24
	s_add_i32 s20, s20, s19
	v_add_co_u32 v14, vcc_lo, v26, s18
	v_add_co_ci_u32_e64 v15, null, s20, v27, vcc_lo
	s_mov_b32 s18, exec_lo
	global_store_dwordx2 v[14:15], v[18:19], off
	s_waitcnt_vscnt null, 0x0
	global_atomic_cmpswap_x2 v[8:9], v11, v[16:19], s[6:7] offset:32 glc
	s_waitcnt vmcnt(0)
	v_cmpx_ne_u64_e64 v[8:9], v[18:19]
	s_cbranch_execz .LBB1_206
; %bb.204:                              ;   in Loop: Header=BB1_145 Depth=1
	s_mov_b32 s19, 0
.LBB1_205:                              ;   Parent Loop BB1_145 Depth=1
                                        ; =>  This Inner Loop Header: Depth=2
	v_mov_b32_e32 v6, s16
	v_mov_b32_e32 v7, s17
	s_sleep 1
	global_store_dwordx2 v[14:15], v[8:9], off
	s_waitcnt_vscnt null, 0x0
	global_atomic_cmpswap_x2 v[6:7], v11, v[6:9], s[6:7] offset:32 glc
	s_waitcnt vmcnt(0)
	v_cmp_eq_u64_e32 vcc_lo, v[6:7], v[8:9]
	v_mov_b32_e32 v9, v7
	v_mov_b32_e32 v8, v6
	s_or_b32 s19, vcc_lo, s19
	s_andn2_b32 exec_lo, exec_lo, s19
	s_cbranch_execnz .LBB1_205
.LBB1_206:                              ;   in Loop: Header=BB1_145 Depth=1
	s_or_b32 exec_lo, exec_lo, s18
	global_load_dwordx2 v[6:7], v11, s[6:7] offset:16
	s_mov_b32 s19, exec_lo
	s_mov_b32 s18, exec_lo
	v_mbcnt_lo_u32_b32 v8, s19, 0
	v_cmpx_eq_u32_e32 0, v8
	s_cbranch_execz .LBB1_208
; %bb.207:                              ;   in Loop: Header=BB1_145 Depth=1
	s_bcnt1_i32_b32 s19, s19
	v_mov_b32_e32 v10, s19
	s_waitcnt vmcnt(0)
	global_atomic_add_x2 v[6:7], v[10:11], off offset:8
.LBB1_208:                              ;   in Loop: Header=BB1_145 Depth=1
	s_or_b32 exec_lo, exec_lo, s18
	s_waitcnt vmcnt(0)
	global_load_dwordx2 v[8:9], v[6:7], off offset:16
	s_waitcnt vmcnt(0)
	v_cmp_eq_u64_e32 vcc_lo, 0, v[8:9]
	s_cbranch_vccnz .LBB1_210
; %bb.209:                              ;   in Loop: Header=BB1_145 Depth=1
	global_load_dword v10, v[6:7], off offset:24
	s_waitcnt vmcnt(0)
	v_readfirstlane_b32 s18, v10
	s_waitcnt_vscnt null, 0x0
	global_store_dwordx2 v[8:9], v[10:11], off
	s_and_b32 m0, s18, 0x7fffff
	s_sendmsg sendmsg(MSG_INTERRUPT)
.LBB1_210:                              ;   in Loop: Header=BB1_145 Depth=1
	s_or_b32 exec_lo, exec_lo, s5
	v_add_co_u32 v6, vcc_lo, v28, v33
	v_add_co_ci_u32_e64 v7, null, 0, v29, vcc_lo
	s_branch .LBB1_214
	.p2align	6
.LBB1_211:                              ;   in Loop: Header=BB1_214 Depth=2
	s_or_b32 exec_lo, exec_lo, s5
	v_readfirstlane_b32 s5, v8
	s_cmp_eq_u32 s5, 0
	s_cbranch_scc1 .LBB1_213
; %bb.212:                              ;   in Loop: Header=BB1_214 Depth=2
	s_sleep 1
	s_cbranch_execnz .LBB1_214
	s_branch .LBB1_216
	.p2align	6
.LBB1_213:                              ;   in Loop: Header=BB1_145 Depth=1
	s_branch .LBB1_216
.LBB1_214:                              ;   Parent Loop BB1_145 Depth=1
                                        ; =>  This Inner Loop Header: Depth=2
	v_mov_b32_e32 v8, 1
	s_and_saveexec_b32 s5, s4
	s_cbranch_execz .LBB1_211
; %bb.215:                              ;   in Loop: Header=BB1_214 Depth=2
	global_load_dword v8, v[2:3], off offset:20 glc dlc
	s_waitcnt vmcnt(0)
	buffer_gl1_inv
	buffer_gl0_inv
	v_and_b32_e32 v8, 1, v8
	s_branch .LBB1_211
.LBB1_216:                              ;   in Loop: Header=BB1_145 Depth=1
	global_load_dwordx2 v[6:7], v[6:7], off
	s_and_saveexec_b32 s18, s4
	s_cbranch_execz .LBB1_144
; %bb.217:                              ;   in Loop: Header=BB1_145 Depth=1
	s_clause 0x2
	global_load_dwordx2 v[2:3], v11, s[6:7] offset:40
	global_load_dwordx2 v[18:19], v11, s[6:7] offset:24 glc dlc
	global_load_dwordx2 v[8:9], v11, s[6:7]
	s_waitcnt vmcnt(2)
	v_readfirstlane_b32 s20, v2
	v_readfirstlane_b32 s21, v3
	s_add_u32 s19, s20, 1
	s_addc_u32 s22, s21, 0
	s_add_u32 s4, s19, s16
	s_addc_u32 s5, s22, s17
	s_cmp_eq_u64 s[4:5], 0
	s_cselect_b32 s5, s22, s5
	s_cselect_b32 s4, s19, s4
	v_mov_b32_e32 v17, s5
	s_and_b64 s[16:17], s[4:5], s[20:21]
	v_mov_b32_e32 v16, s4
	s_mul_i32 s17, s17, 24
	s_mul_hi_u32 s19, s16, 24
	s_mul_i32 s16, s16, 24
	s_add_i32 s19, s19, s17
	s_waitcnt vmcnt(0)
	v_add_co_u32 v2, vcc_lo, v8, s16
	v_add_co_ci_u32_e64 v3, null, s19, v9, vcc_lo
	global_store_dwordx2 v[2:3], v[18:19], off
	s_waitcnt_vscnt null, 0x0
	global_atomic_cmpswap_x2 v[16:17], v11, v[16:19], s[6:7] offset:24 glc
	s_waitcnt vmcnt(0)
	v_cmp_ne_u64_e32 vcc_lo, v[16:17], v[18:19]
	s_and_b32 exec_lo, exec_lo, vcc_lo
	s_cbranch_execz .LBB1_144
; %bb.218:                              ;   in Loop: Header=BB1_145 Depth=1
	s_mov_b32 s16, 0
.LBB1_219:                              ;   Parent Loop BB1_145 Depth=1
                                        ; =>  This Inner Loop Header: Depth=2
	v_mov_b32_e32 v14, s4
	v_mov_b32_e32 v15, s5
	s_sleep 1
	global_store_dwordx2 v[2:3], v[16:17], off
	s_waitcnt_vscnt null, 0x0
	global_atomic_cmpswap_x2 v[8:9], v11, v[14:17], s[6:7] offset:24 glc
	s_waitcnt vmcnt(0)
	v_cmp_eq_u64_e32 vcc_lo, v[8:9], v[16:17]
	v_mov_b32_e32 v17, v9
	v_mov_b32_e32 v16, v8
	s_or_b32 s16, vcc_lo, s16
	s_andn2_b32 exec_lo, exec_lo, s16
	s_cbranch_execnz .LBB1_219
	s_branch .LBB1_144
.LBB1_220:
                                        ; implicit-def: $vgpr6_vgpr7
	s_cbranch_execnz .LBB1_222
	s_branch .LBB1_249
.LBB1_221:
	s_branch .LBB1_249
.LBB1_222:
	v_readfirstlane_b32 s4, v32
	v_mov_b32_e32 v10, 0
	v_mov_b32_e32 v11, 0
	v_cmp_eq_u32_e64 s4, s4, v32
	s_and_saveexec_b32 s5, s4
	s_cbranch_execz .LBB1_228
; %bb.223:
	v_mov_b32_e32 v2, 0
	s_mov_b32 s10, exec_lo
	global_load_dwordx2 v[8:9], v2, s[6:7] offset:24 glc dlc
	s_waitcnt vmcnt(0)
	buffer_gl1_inv
	buffer_gl0_inv
	s_clause 0x1
	global_load_dwordx2 v[6:7], v2, s[6:7] offset:40
	global_load_dwordx2 v[10:11], v2, s[6:7]
	s_waitcnt vmcnt(1)
	v_and_b32_e32 v3, v7, v9
	v_and_b32_e32 v6, v6, v8
	v_mul_lo_u32 v3, v3, 24
	v_mul_hi_u32 v7, v6, 24
	v_mul_lo_u32 v6, v6, 24
	v_add_nc_u32_e32 v3, v7, v3
	s_waitcnt vmcnt(0)
	v_add_co_u32 v6, vcc_lo, v10, v6
	v_add_co_ci_u32_e64 v7, null, v11, v3, vcc_lo
	global_load_dwordx2 v[6:7], v[6:7], off glc dlc
	s_waitcnt vmcnt(0)
	global_atomic_cmpswap_x2 v[10:11], v2, v[6:9], s[6:7] offset:24 glc
	s_waitcnt vmcnt(0)
	buffer_gl1_inv
	buffer_gl0_inv
	v_cmpx_ne_u64_e64 v[10:11], v[8:9]
	s_cbranch_execz .LBB1_227
; %bb.224:
	s_mov_b32 s11, 0
	.p2align	6
.LBB1_225:                              ; =>This Inner Loop Header: Depth=1
	s_sleep 1
	s_clause 0x1
	global_load_dwordx2 v[6:7], v2, s[6:7] offset:40
	global_load_dwordx2 v[12:13], v2, s[6:7]
	v_mov_b32_e32 v8, v10
	v_mov_b32_e32 v9, v11
	s_waitcnt vmcnt(1)
	v_and_b32_e32 v3, v6, v8
	v_and_b32_e32 v6, v7, v9
	s_waitcnt vmcnt(0)
	v_mad_u64_u32 v[10:11], null, v3, 24, v[12:13]
	v_mov_b32_e32 v3, v11
	v_mad_u64_u32 v[6:7], null, v6, 24, v[3:4]
	v_mov_b32_e32 v11, v6
	global_load_dwordx2 v[6:7], v[10:11], off glc dlc
	s_waitcnt vmcnt(0)
	global_atomic_cmpswap_x2 v[10:11], v2, v[6:9], s[6:7] offset:24 glc
	s_waitcnt vmcnt(0)
	buffer_gl1_inv
	buffer_gl0_inv
	v_cmp_eq_u64_e32 vcc_lo, v[10:11], v[8:9]
	s_or_b32 s11, vcc_lo, s11
	s_andn2_b32 exec_lo, exec_lo, s11
	s_cbranch_execnz .LBB1_225
; %bb.226:
	s_or_b32 exec_lo, exec_lo, s11
.LBB1_227:
	s_or_b32 exec_lo, exec_lo, s10
.LBB1_228:
	s_or_b32 exec_lo, exec_lo, s5
	v_mov_b32_e32 v2, 0
	v_readfirstlane_b32 s11, v11
	v_readfirstlane_b32 s10, v10
	s_mov_b32 s5, exec_lo
	s_clause 0x1
	global_load_dwordx2 v[12:13], v2, s[6:7] offset:40
	global_load_dwordx4 v[6:9], v2, s[6:7]
	s_waitcnt vmcnt(1)
	v_readfirstlane_b32 s12, v12
	v_readfirstlane_b32 s13, v13
	s_and_b64 s[12:13], s[12:13], s[10:11]
	s_mul_i32 s14, s13, 24
	s_mul_hi_u32 s15, s12, 24
	s_mul_i32 s16, s12, 24
	s_add_i32 s15, s15, s14
	s_waitcnt vmcnt(0)
	v_add_co_u32 v10, vcc_lo, v6, s16
	v_add_co_ci_u32_e64 v11, null, s15, v7, vcc_lo
	s_and_saveexec_b32 s14, s4
	s_cbranch_execz .LBB1_230
; %bb.229:
	v_mov_b32_e32 v12, s5
	v_mov_b32_e32 v13, v2
	;; [unrolled: 1-line block ×4, first 2 shown]
	global_store_dwordx4 v[10:11], v[12:15], off offset:8
.LBB1_230:
	s_or_b32 exec_lo, exec_lo, s14
	s_lshl_b64 s[12:13], s[12:13], 12
	v_and_or_b32 v0, 0xffffff1f, v0, 32
	v_add_co_u32 v8, vcc_lo, v8, s12
	v_add_co_ci_u32_e64 v9, null, s13, v9, vcc_lo
	s_mov_b32 s12, 0
	v_readfirstlane_b32 s16, v8
	v_add_co_u32 v8, vcc_lo, v8, v33
	s_mov_b32 s13, s12
	s_mov_b32 s14, s12
	;; [unrolled: 1-line block ×3, first 2 shown]
	v_mov_b32_e32 v3, v2
	v_readfirstlane_b32 s17, v9
	v_mov_b32_e32 v12, s12
	v_add_co_ci_u32_e64 v9, null, 0, v9, vcc_lo
	v_mov_b32_e32 v13, s13
	v_mov_b32_e32 v14, s14
	;; [unrolled: 1-line block ×3, first 2 shown]
	global_store_dwordx4 v33, v[0:3], s[16:17]
	global_store_dwordx4 v33, v[12:15], s[16:17] offset:16
	global_store_dwordx4 v33, v[12:15], s[16:17] offset:32
	;; [unrolled: 1-line block ×3, first 2 shown]
	s_and_saveexec_b32 s5, s4
	s_cbranch_execz .LBB1_238
; %bb.231:
	v_mov_b32_e32 v12, 0
	v_mov_b32_e32 v13, s10
	;; [unrolled: 1-line block ×3, first 2 shown]
	s_clause 0x1
	global_load_dwordx2 v[15:16], v12, s[6:7] offset:32 glc dlc
	global_load_dwordx2 v[0:1], v12, s[6:7] offset:40
	s_waitcnt vmcnt(0)
	v_readfirstlane_b32 s12, v0
	v_readfirstlane_b32 s13, v1
	s_and_b64 s[12:13], s[12:13], s[10:11]
	s_mul_i32 s13, s13, 24
	s_mul_hi_u32 s14, s12, 24
	s_mul_i32 s12, s12, 24
	s_add_i32 s14, s14, s13
	v_add_co_u32 v6, vcc_lo, v6, s12
	v_add_co_ci_u32_e64 v7, null, s14, v7, vcc_lo
	s_mov_b32 s12, exec_lo
	global_store_dwordx2 v[6:7], v[15:16], off
	s_waitcnt_vscnt null, 0x0
	global_atomic_cmpswap_x2 v[2:3], v12, v[13:16], s[6:7] offset:32 glc
	s_waitcnt vmcnt(0)
	v_cmpx_ne_u64_e64 v[2:3], v[15:16]
	s_cbranch_execz .LBB1_234
; %bb.232:
	s_mov_b32 s13, 0
.LBB1_233:                              ; =>This Inner Loop Header: Depth=1
	v_mov_b32_e32 v0, s10
	v_mov_b32_e32 v1, s11
	s_sleep 1
	global_store_dwordx2 v[6:7], v[2:3], off
	s_waitcnt_vscnt null, 0x0
	global_atomic_cmpswap_x2 v[0:1], v12, v[0:3], s[6:7] offset:32 glc
	s_waitcnt vmcnt(0)
	v_cmp_eq_u64_e32 vcc_lo, v[0:1], v[2:3]
	v_mov_b32_e32 v3, v1
	v_mov_b32_e32 v2, v0
	s_or_b32 s13, vcc_lo, s13
	s_andn2_b32 exec_lo, exec_lo, s13
	s_cbranch_execnz .LBB1_233
.LBB1_234:
	s_or_b32 exec_lo, exec_lo, s12
	v_mov_b32_e32 v3, 0
	s_mov_b32 s13, exec_lo
	s_mov_b32 s12, exec_lo
	v_mbcnt_lo_u32_b32 v2, s13, 0
	global_load_dwordx2 v[0:1], v3, s[6:7] offset:16
	v_cmpx_eq_u32_e32 0, v2
	s_cbranch_execz .LBB1_236
; %bb.235:
	s_bcnt1_i32_b32 s13, s13
	v_mov_b32_e32 v2, s13
	s_waitcnt vmcnt(0)
	global_atomic_add_x2 v[0:1], v[2:3], off offset:8
.LBB1_236:
	s_or_b32 exec_lo, exec_lo, s12
	s_waitcnt vmcnt(0)
	global_load_dwordx2 v[2:3], v[0:1], off offset:16
	s_waitcnt vmcnt(0)
	v_cmp_eq_u64_e32 vcc_lo, 0, v[2:3]
	s_cbranch_vccnz .LBB1_238
; %bb.237:
	global_load_dword v0, v[0:1], off offset:24
	v_mov_b32_e32 v1, 0
	s_waitcnt vmcnt(0)
	v_readfirstlane_b32 s12, v0
	s_waitcnt_vscnt null, 0x0
	global_store_dwordx2 v[2:3], v[0:1], off
	s_and_b32 m0, s12, 0x7fffff
	s_sendmsg sendmsg(MSG_INTERRUPT)
.LBB1_238:
	s_or_b32 exec_lo, exec_lo, s5
	s_branch .LBB1_242
	.p2align	6
.LBB1_239:                              ;   in Loop: Header=BB1_242 Depth=1
	s_or_b32 exec_lo, exec_lo, s5
	v_readfirstlane_b32 s5, v0
	s_cmp_eq_u32 s5, 0
	s_cbranch_scc1 .LBB1_241
; %bb.240:                              ;   in Loop: Header=BB1_242 Depth=1
	s_sleep 1
	s_cbranch_execnz .LBB1_242
	s_branch .LBB1_244
	.p2align	6
.LBB1_241:
	s_branch .LBB1_244
.LBB1_242:                              ; =>This Inner Loop Header: Depth=1
	v_mov_b32_e32 v0, 1
	s_and_saveexec_b32 s5, s4
	s_cbranch_execz .LBB1_239
; %bb.243:                              ;   in Loop: Header=BB1_242 Depth=1
	global_load_dword v0, v[10:11], off offset:20 glc dlc
	s_waitcnt vmcnt(0)
	buffer_gl1_inv
	buffer_gl0_inv
	v_and_b32_e32 v0, 1, v0
	s_branch .LBB1_239
.LBB1_244:
	global_load_dwordx2 v[6:7], v[8:9], off
	s_and_saveexec_b32 s12, s4
	s_cbranch_execz .LBB1_248
; %bb.245:
	v_mov_b32_e32 v10, 0
	s_clause 0x2
	global_load_dwordx2 v[0:1], v10, s[6:7] offset:40
	global_load_dwordx2 v[13:14], v10, s[6:7] offset:24 glc dlc
	global_load_dwordx2 v[2:3], v10, s[6:7]
	s_waitcnt vmcnt(2)
	v_readfirstlane_b32 s14, v0
	v_readfirstlane_b32 s15, v1
	s_add_u32 s13, s14, 1
	s_addc_u32 s16, s15, 0
	s_add_u32 s4, s13, s10
	s_addc_u32 s5, s16, s11
	s_cmp_eq_u64 s[4:5], 0
	s_cselect_b32 s5, s16, s5
	s_cselect_b32 s4, s13, s4
	v_mov_b32_e32 v12, s5
	s_and_b64 s[10:11], s[4:5], s[14:15]
	v_mov_b32_e32 v11, s4
	s_mul_i32 s11, s11, 24
	s_mul_hi_u32 s13, s10, 24
	s_mul_i32 s10, s10, 24
	s_add_i32 s13, s13, s11
	s_waitcnt vmcnt(0)
	v_add_co_u32 v8, vcc_lo, v2, s10
	v_add_co_ci_u32_e64 v9, null, s13, v3, vcc_lo
	global_store_dwordx2 v[8:9], v[13:14], off
	s_waitcnt_vscnt null, 0x0
	global_atomic_cmpswap_x2 v[2:3], v10, v[11:14], s[6:7] offset:24 glc
	s_waitcnt vmcnt(0)
	v_cmp_ne_u64_e32 vcc_lo, v[2:3], v[13:14]
	s_and_b32 exec_lo, exec_lo, vcc_lo
	s_cbranch_execz .LBB1_248
; %bb.246:
	s_mov_b32 s10, 0
.LBB1_247:                              ; =>This Inner Loop Header: Depth=1
	v_mov_b32_e32 v0, s4
	v_mov_b32_e32 v1, s5
	s_sleep 1
	global_store_dwordx2 v[8:9], v[2:3], off
	s_waitcnt_vscnt null, 0x0
	global_atomic_cmpswap_x2 v[0:1], v10, v[0:3], s[6:7] offset:24 glc
	s_waitcnt vmcnt(0)
	v_cmp_eq_u64_e32 vcc_lo, v[0:1], v[2:3]
	v_mov_b32_e32 v3, v1
	v_mov_b32_e32 v2, v0
	s_or_b32 s10, vcc_lo, s10
	s_andn2_b32 exec_lo, exec_lo, s10
	s_cbranch_execnz .LBB1_247
.LBB1_248:
	s_or_b32 exec_lo, exec_lo, s12
.LBB1_249:
	v_readfirstlane_b32 s4, v32
	v_mov_b32_e32 v10, 0
	v_mov_b32_e32 v11, 0
	v_cmp_eq_u32_e64 s4, s4, v32
	s_and_saveexec_b32 s5, s4
	s_cbranch_execz .LBB1_255
; %bb.250:
	s_waitcnt vmcnt(0)
	v_mov_b32_e32 v0, 0
	s_mov_b32 s10, exec_lo
	global_load_dwordx2 v[12:13], v0, s[6:7] offset:24 glc dlc
	s_waitcnt vmcnt(0)
	buffer_gl1_inv
	buffer_gl0_inv
	s_clause 0x1
	global_load_dwordx2 v[1:2], v0, s[6:7] offset:40
	global_load_dwordx2 v[8:9], v0, s[6:7]
	s_waitcnt vmcnt(1)
	v_and_b32_e32 v2, v2, v13
	v_and_b32_e32 v1, v1, v12
	v_mul_lo_u32 v2, v2, 24
	v_mul_hi_u32 v3, v1, 24
	v_mul_lo_u32 v1, v1, 24
	v_add_nc_u32_e32 v2, v3, v2
	s_waitcnt vmcnt(0)
	v_add_co_u32 v1, vcc_lo, v8, v1
	v_add_co_ci_u32_e64 v2, null, v9, v2, vcc_lo
	global_load_dwordx2 v[10:11], v[1:2], off glc dlc
	s_waitcnt vmcnt(0)
	global_atomic_cmpswap_x2 v[10:11], v0, v[10:13], s[6:7] offset:24 glc
	s_waitcnt vmcnt(0)
	buffer_gl1_inv
	buffer_gl0_inv
	v_cmpx_ne_u64_e64 v[10:11], v[12:13]
	s_cbranch_execz .LBB1_254
; %bb.251:
	s_mov_b32 s11, 0
	.p2align	6
.LBB1_252:                              ; =>This Inner Loop Header: Depth=1
	s_sleep 1
	s_clause 0x1
	global_load_dwordx2 v[1:2], v0, s[6:7] offset:40
	global_load_dwordx2 v[8:9], v0, s[6:7]
	v_mov_b32_e32 v13, v11
	v_mov_b32_e32 v12, v10
	s_waitcnt vmcnt(1)
	v_and_b32_e32 v1, v1, v12
	v_and_b32_e32 v2, v2, v13
	s_waitcnt vmcnt(0)
	v_mad_u64_u32 v[8:9], null, v1, 24, v[8:9]
	v_mov_b32_e32 v1, v9
	v_mad_u64_u32 v[1:2], null, v2, 24, v[1:2]
	v_mov_b32_e32 v9, v1
	global_load_dwordx2 v[10:11], v[8:9], off glc dlc
	s_waitcnt vmcnt(0)
	global_atomic_cmpswap_x2 v[10:11], v0, v[10:13], s[6:7] offset:24 glc
	s_waitcnt vmcnt(0)
	buffer_gl1_inv
	buffer_gl0_inv
	v_cmp_eq_u64_e32 vcc_lo, v[10:11], v[12:13]
	s_or_b32 s11, vcc_lo, s11
	s_andn2_b32 exec_lo, exec_lo, s11
	s_cbranch_execnz .LBB1_252
; %bb.253:
	s_or_b32 exec_lo, exec_lo, s11
.LBB1_254:
	s_or_b32 exec_lo, exec_lo, s10
.LBB1_255:
	s_or_b32 exec_lo, exec_lo, s5
	v_mov_b32_e32 v9, 0
	v_readfirstlane_b32 s11, v11
	v_readfirstlane_b32 s10, v10
	s_mov_b32 s5, exec_lo
	s_clause 0x1
	global_load_dwordx2 v[12:13], v9, s[6:7] offset:40
	global_load_dwordx4 v[0:3], v9, s[6:7]
	s_waitcnt vmcnt(1)
	v_readfirstlane_b32 s12, v12
	v_readfirstlane_b32 s13, v13
	s_and_b64 s[12:13], s[12:13], s[10:11]
	s_mul_i32 s14, s13, 24
	s_mul_hi_u32 s15, s12, 24
	s_mul_i32 s16, s12, 24
	s_add_i32 s15, s15, s14
	s_waitcnt vmcnt(0)
	v_add_co_u32 v10, vcc_lo, v0, s16
	v_add_co_ci_u32_e64 v11, null, s15, v1, vcc_lo
	s_and_saveexec_b32 s14, s4
	s_cbranch_execz .LBB1_257
; %bb.256:
	v_mov_b32_e32 v8, s5
	v_mov_b32_e32 v13, v9
	;; [unrolled: 1-line block ×5, first 2 shown]
	global_store_dwordx4 v[10:11], v[12:15], off offset:8
.LBB1_257:
	s_or_b32 exec_lo, exec_lo, s14
	s_lshl_b64 s[12:13], s[12:13], 12
	v_and_or_b32 v6, 0xffffff1f, v6, 32
	v_add_co_u32 v2, vcc_lo, v2, s12
	v_add_co_ci_u32_e64 v3, null, s13, v3, vcc_lo
	s_mov_b32 s12, 0
	v_add_co_u32 v12, vcc_lo, v2, v33
	s_mov_b32 s15, s12
	s_mov_b32 s13, s12
	;; [unrolled: 1-line block ×3, first 2 shown]
	v_mov_b32_e32 v8, 0x331
	v_readfirstlane_b32 s16, v2
	v_readfirstlane_b32 s17, v3
	v_mov_b32_e32 v17, s15
	v_add_co_ci_u32_e64 v13, null, 0, v3, vcc_lo
	v_mov_b32_e32 v16, s14
	v_mov_b32_e32 v15, s13
	;; [unrolled: 1-line block ×3, first 2 shown]
	global_store_dwordx4 v33, v[6:9], s[16:17]
	global_store_dwordx4 v33, v[14:17], s[16:17] offset:16
	global_store_dwordx4 v33, v[14:17], s[16:17] offset:32
	;; [unrolled: 1-line block ×3, first 2 shown]
	s_and_saveexec_b32 s5, s4
	s_cbranch_execz .LBB1_265
; %bb.258:
	v_mov_b32_e32 v8, 0
	v_mov_b32_e32 v14, s10
	;; [unrolled: 1-line block ×3, first 2 shown]
	s_clause 0x1
	global_load_dwordx2 v[16:17], v8, s[6:7] offset:32 glc dlc
	global_load_dwordx2 v[2:3], v8, s[6:7] offset:40
	s_waitcnt vmcnt(0)
	v_readfirstlane_b32 s12, v2
	v_readfirstlane_b32 s13, v3
	s_and_b64 s[12:13], s[12:13], s[10:11]
	s_mul_i32 s13, s13, 24
	s_mul_hi_u32 s14, s12, 24
	s_mul_i32 s12, s12, 24
	s_add_i32 s14, s14, s13
	v_add_co_u32 v6, vcc_lo, v0, s12
	v_add_co_ci_u32_e64 v7, null, s14, v1, vcc_lo
	s_mov_b32 s12, exec_lo
	global_store_dwordx2 v[6:7], v[16:17], off
	s_waitcnt_vscnt null, 0x0
	global_atomic_cmpswap_x2 v[2:3], v8, v[14:17], s[6:7] offset:32 glc
	s_waitcnt vmcnt(0)
	v_cmpx_ne_u64_e64 v[2:3], v[16:17]
	s_cbranch_execz .LBB1_261
; %bb.259:
	s_mov_b32 s13, 0
.LBB1_260:                              ; =>This Inner Loop Header: Depth=1
	v_mov_b32_e32 v0, s10
	v_mov_b32_e32 v1, s11
	s_sleep 1
	global_store_dwordx2 v[6:7], v[2:3], off
	s_waitcnt_vscnt null, 0x0
	global_atomic_cmpswap_x2 v[0:1], v8, v[0:3], s[6:7] offset:32 glc
	s_waitcnt vmcnt(0)
	v_cmp_eq_u64_e32 vcc_lo, v[0:1], v[2:3]
	v_mov_b32_e32 v3, v1
	v_mov_b32_e32 v2, v0
	s_or_b32 s13, vcc_lo, s13
	s_andn2_b32 exec_lo, exec_lo, s13
	s_cbranch_execnz .LBB1_260
.LBB1_261:
	s_or_b32 exec_lo, exec_lo, s12
	v_mov_b32_e32 v3, 0
	s_mov_b32 s13, exec_lo
	s_mov_b32 s12, exec_lo
	v_mbcnt_lo_u32_b32 v2, s13, 0
	global_load_dwordx2 v[0:1], v3, s[6:7] offset:16
	v_cmpx_eq_u32_e32 0, v2
	s_cbranch_execz .LBB1_263
; %bb.262:
	s_bcnt1_i32_b32 s13, s13
	v_mov_b32_e32 v2, s13
	s_waitcnt vmcnt(0)
	global_atomic_add_x2 v[0:1], v[2:3], off offset:8
.LBB1_263:
	s_or_b32 exec_lo, exec_lo, s12
	s_waitcnt vmcnt(0)
	global_load_dwordx2 v[2:3], v[0:1], off offset:16
	s_waitcnt vmcnt(0)
	v_cmp_eq_u64_e32 vcc_lo, 0, v[2:3]
	s_cbranch_vccnz .LBB1_265
; %bb.264:
	global_load_dword v0, v[0:1], off offset:24
	v_mov_b32_e32 v1, 0
	s_waitcnt vmcnt(0)
	v_readfirstlane_b32 s12, v0
	s_waitcnt_vscnt null, 0x0
	global_store_dwordx2 v[2:3], v[0:1], off
	s_and_b32 m0, s12, 0x7fffff
	s_sendmsg sendmsg(MSG_INTERRUPT)
.LBB1_265:
	s_or_b32 exec_lo, exec_lo, s5
	s_branch .LBB1_269
	.p2align	6
.LBB1_266:                              ;   in Loop: Header=BB1_269 Depth=1
	s_or_b32 exec_lo, exec_lo, s5
	v_readfirstlane_b32 s5, v0
	s_cmp_eq_u32 s5, 0
	s_cbranch_scc1 .LBB1_268
; %bb.267:                              ;   in Loop: Header=BB1_269 Depth=1
	s_sleep 1
	s_cbranch_execnz .LBB1_269
	s_branch .LBB1_271
	.p2align	6
.LBB1_268:
	s_branch .LBB1_271
.LBB1_269:                              ; =>This Inner Loop Header: Depth=1
	v_mov_b32_e32 v0, 1
	s_and_saveexec_b32 s5, s4
	s_cbranch_execz .LBB1_266
; %bb.270:                              ;   in Loop: Header=BB1_269 Depth=1
	global_load_dword v0, v[10:11], off offset:20 glc dlc
	s_waitcnt vmcnt(0)
	buffer_gl1_inv
	buffer_gl0_inv
	v_and_b32_e32 v0, 1, v0
	s_branch .LBB1_266
.LBB1_271:
	global_load_dwordx2 v[0:1], v[12:13], off
	s_and_saveexec_b32 s12, s4
	s_cbranch_execz .LBB1_275
; %bb.272:
	v_mov_b32_e32 v10, 0
	s_clause 0x2
	global_load_dwordx2 v[2:3], v10, s[6:7] offset:40
	global_load_dwordx2 v[13:14], v10, s[6:7] offset:24 glc dlc
	global_load_dwordx2 v[6:7], v10, s[6:7]
	s_waitcnt vmcnt(2)
	v_readfirstlane_b32 s14, v2
	v_readfirstlane_b32 s15, v3
	s_add_u32 s13, s14, 1
	s_addc_u32 s16, s15, 0
	s_add_u32 s4, s13, s10
	s_addc_u32 s5, s16, s11
	s_cmp_eq_u64 s[4:5], 0
	s_cselect_b32 s5, s16, s5
	s_cselect_b32 s4, s13, s4
	v_mov_b32_e32 v12, s5
	s_and_b64 s[10:11], s[4:5], s[14:15]
	v_mov_b32_e32 v11, s4
	s_mul_i32 s11, s11, 24
	s_mul_hi_u32 s13, s10, 24
	s_mul_i32 s10, s10, 24
	s_add_i32 s13, s13, s11
	s_waitcnt vmcnt(0)
	v_add_co_u32 v2, vcc_lo, v6, s10
	v_add_co_ci_u32_e64 v3, null, s13, v7, vcc_lo
	global_store_dwordx2 v[2:3], v[13:14], off
	s_waitcnt_vscnt null, 0x0
	global_atomic_cmpswap_x2 v[8:9], v10, v[11:14], s[6:7] offset:24 glc
	s_waitcnt vmcnt(0)
	v_cmp_ne_u64_e32 vcc_lo, v[8:9], v[13:14]
	s_and_b32 exec_lo, exec_lo, vcc_lo
	s_cbranch_execz .LBB1_275
; %bb.273:
	s_mov_b32 s10, 0
.LBB1_274:                              ; =>This Inner Loop Header: Depth=1
	v_mov_b32_e32 v6, s4
	v_mov_b32_e32 v7, s5
	s_sleep 1
	global_store_dwordx2 v[2:3], v[8:9], off
	s_waitcnt_vscnt null, 0x0
	global_atomic_cmpswap_x2 v[6:7], v10, v[6:9], s[6:7] offset:24 glc
	s_waitcnt vmcnt(0)
	v_cmp_eq_u64_e32 vcc_lo, v[6:7], v[8:9]
	v_mov_b32_e32 v9, v7
	v_mov_b32_e32 v8, v6
	s_or_b32 s10, vcc_lo, s10
	s_andn2_b32 exec_lo, exec_lo, s10
	s_cbranch_execnz .LBB1_274
.LBB1_275:
	s_or_b32 exec_lo, exec_lo, s12
	v_mov_b32_e32 v7, v5
	v_mov_b32_e32 v6, v4
	s_mov_b32 s4, 0
.LBB1_276:                              ; =>This Inner Loop Header: Depth=1
	global_load_ubyte v8, v[6:7], off
	v_add_co_u32 v2, vcc_lo, v6, 1
	v_add_co_ci_u32_e64 v3, null, 0, v7, vcc_lo
	v_mov_b32_e32 v7, v3
	v_mov_b32_e32 v6, v2
	s_waitcnt vmcnt(0)
	v_cmp_eq_u16_e32 vcc_lo, 0, v8
	s_or_b32 s4, vcc_lo, s4
	s_andn2_b32 exec_lo, exec_lo, s4
	s_cbranch_execnz .LBB1_276
; %bb.277:
	s_or_b32 exec_lo, exec_lo, s4
	s_mov_b32 s4, exec_lo
	v_cmpx_ne_u64_e32 0, v[4:5]
	s_xor_b32 s14, exec_lo, s4
	s_cbranch_execz .LBB1_363
; %bb.278:
	v_sub_nc_u32_e32 v26, v2, v4
	v_and_b32_e32 v34, 2, v0
	v_mov_b32_e32 v7, 0
	v_and_b32_e32 v0, -3, v0
	v_mov_b32_e32 v8, 2
	v_ashrrev_i32_e32 v27, 31, v26
	v_mov_b32_e32 v9, 1
	s_mov_b32 s16, 0
	s_mov_b32 s15, 0
	s_branch .LBB1_280
.LBB1_279:                              ;   in Loop: Header=BB1_280 Depth=1
	s_or_b32 exec_lo, exec_lo, s12
	v_sub_co_u32 v26, vcc_lo, v26, v28
	v_sub_co_ci_u32_e64 v27, null, v27, v29, vcc_lo
	v_add_co_u32 v4, s4, v4, v28
	v_add_co_ci_u32_e64 v5, null, v5, v29, s4
	v_cmp_eq_u64_e32 vcc_lo, 0, v[26:27]
	s_or_b32 s15, vcc_lo, s15
	s_andn2_b32 exec_lo, exec_lo, s15
	s_cbranch_execz .LBB1_362
.LBB1_280:                              ; =>This Loop Header: Depth=1
                                        ;     Child Loop BB1_283 Depth 2
                                        ;     Child Loop BB1_291 Depth 2
	;; [unrolled: 1-line block ×11, first 2 shown]
	v_cmp_gt_u64_e32 vcc_lo, 56, v[26:27]
	s_mov_b32 s5, exec_lo
	v_cndmask_b32_e32 v29, 0, v27, vcc_lo
	v_cndmask_b32_e32 v28, 56, v26, vcc_lo
	v_add_co_u32 v12, vcc_lo, v4, 8
	v_add_co_ci_u32_e64 v13, null, 0, v5, vcc_lo
	v_cmpx_gt_u64_e32 8, v[26:27]
	s_xor_b32 s5, exec_lo, s5
	s_cbranch_execz .LBB1_286
; %bb.281:                              ;   in Loop: Header=BB1_280 Depth=1
	v_mov_b32_e32 v2, 0
	v_mov_b32_e32 v3, 0
	s_mov_b32 s12, exec_lo
	v_cmpx_ne_u64_e32 0, v[26:27]
	s_cbranch_execz .LBB1_285
; %bb.282:                              ;   in Loop: Header=BB1_280 Depth=1
	v_lshlrev_b64 v[10:11], 3, v[28:29]
	v_mov_b32_e32 v2, 0
	v_mov_b32_e32 v12, v5
	;; [unrolled: 1-line block ×4, first 2 shown]
	s_mov_b64 s[10:11], 0
	s_mov_b32 s13, 0
	.p2align	6
.LBB1_283:                              ;   Parent Loop BB1_280 Depth=1
                                        ; =>  This Inner Loop Header: Depth=2
	global_load_ubyte v6, v[11:12], off
	v_mov_b32_e32 v14, s16
	v_add_co_u32 v11, vcc_lo, v11, 1
	v_add_co_ci_u32_e64 v12, null, 0, v12, vcc_lo
	s_waitcnt vmcnt(0)
	v_and_b32_e32 v13, 0xffff, v6
	v_lshlrev_b64 v[13:14], s10, v[13:14]
	s_add_u32 s10, s10, 8
	s_addc_u32 s11, s11, 0
	v_cmp_eq_u32_e64 s4, s10, v10
	v_or_b32_e32 v3, v14, v3
	v_or_b32_e32 v2, v13, v2
	s_or_b32 s13, s4, s13
	s_andn2_b32 exec_lo, exec_lo, s13
	s_cbranch_execnz .LBB1_283
; %bb.284:                              ;   in Loop: Header=BB1_280 Depth=1
	s_or_b32 exec_lo, exec_lo, s13
.LBB1_285:                              ;   in Loop: Header=BB1_280 Depth=1
	s_or_b32 exec_lo, exec_lo, s12
	v_mov_b32_e32 v13, v5
	v_mov_b32_e32 v12, v4
.LBB1_286:                              ;   in Loop: Header=BB1_280 Depth=1
	s_or_saveexec_b32 s4, s5
	v_mov_b32_e32 v6, 0
	s_xor_b32 exec_lo, exec_lo, s4
	s_cbranch_execz .LBB1_288
; %bb.287:                              ;   in Loop: Header=BB1_280 Depth=1
	global_load_dwordx2 v[2:3], v[4:5], off
	v_add_nc_u32_e32 v6, -8, v28
.LBB1_288:                              ;   in Loop: Header=BB1_280 Depth=1
	s_or_b32 exec_lo, exec_lo, s4
	v_add_co_u32 v14, s4, v12, 8
	v_add_co_ci_u32_e64 v15, null, 0, v13, s4
                                        ; implicit-def: $vgpr10_vgpr11
	s_mov_b32 s4, exec_lo
	v_cmpx_gt_u32_e32 8, v6
	s_xor_b32 s12, exec_lo, s4
	s_cbranch_execz .LBB1_294
; %bb.289:                              ;   in Loop: Header=BB1_280 Depth=1
	v_mov_b32_e32 v10, 0
	v_mov_b32_e32 v11, 0
	s_mov_b32 s13, exec_lo
	v_cmpx_ne_u32_e32 0, v6
	s_cbranch_execz .LBB1_293
; %bb.290:                              ;   in Loop: Header=BB1_280 Depth=1
	v_mov_b32_e32 v10, 0
	v_mov_b32_e32 v11, 0
	s_mov_b64 s[4:5], 0
	s_mov_b32 s17, 0
	s_mov_b64 s[10:11], 0
	.p2align	6
.LBB1_291:                              ;   Parent Loop BB1_280 Depth=1
                                        ; =>  This Inner Loop Header: Depth=2
	v_add_co_u32 v14, vcc_lo, v12, s10
	v_add_co_ci_u32_e64 v15, null, s11, v13, vcc_lo
	s_add_u32 s10, s10, 1
	s_addc_u32 s11, s11, 0
	v_cmp_eq_u32_e32 vcc_lo, s10, v6
	global_load_ubyte v14, v[14:15], off
	v_mov_b32_e32 v15, s16
	s_waitcnt vmcnt(0)
	v_and_b32_e32 v14, 0xffff, v14
	v_lshlrev_b64 v[14:15], s4, v[14:15]
	s_add_u32 s4, s4, 8
	s_addc_u32 s5, s5, 0
	s_or_b32 s17, vcc_lo, s17
	v_or_b32_e32 v11, v15, v11
	v_or_b32_e32 v10, v14, v10
	s_andn2_b32 exec_lo, exec_lo, s17
	s_cbranch_execnz .LBB1_291
; %bb.292:                              ;   in Loop: Header=BB1_280 Depth=1
	s_or_b32 exec_lo, exec_lo, s17
.LBB1_293:                              ;   in Loop: Header=BB1_280 Depth=1
	s_or_b32 exec_lo, exec_lo, s13
	v_mov_b32_e32 v15, v13
	v_mov_b32_e32 v14, v12
                                        ; implicit-def: $vgpr6
.LBB1_294:                              ;   in Loop: Header=BB1_280 Depth=1
	s_or_saveexec_b32 s4, s12
	v_mov_b32_e32 v18, 0
	s_xor_b32 exec_lo, exec_lo, s4
	s_cbranch_execz .LBB1_296
; %bb.295:                              ;   in Loop: Header=BB1_280 Depth=1
	global_load_dwordx2 v[10:11], v[12:13], off
	v_add_nc_u32_e32 v18, -8, v6
.LBB1_296:                              ;   in Loop: Header=BB1_280 Depth=1
	s_or_b32 exec_lo, exec_lo, s4
	v_add_co_u32 v16, s4, v14, 8
	v_add_co_ci_u32_e64 v17, null, 0, v15, s4
	s_mov_b32 s4, exec_lo
	v_cmpx_gt_u32_e32 8, v18
	s_xor_b32 s12, exec_lo, s4
	s_cbranch_execz .LBB1_302
; %bb.297:                              ;   in Loop: Header=BB1_280 Depth=1
	v_mov_b32_e32 v12, 0
	v_mov_b32_e32 v13, 0
	s_mov_b32 s13, exec_lo
	v_cmpx_ne_u32_e32 0, v18
	s_cbranch_execz .LBB1_301
; %bb.298:                              ;   in Loop: Header=BB1_280 Depth=1
	v_mov_b32_e32 v12, 0
	v_mov_b32_e32 v13, 0
	s_mov_b64 s[4:5], 0
	s_mov_b32 s17, 0
	s_mov_b64 s[10:11], 0
	.p2align	6
.LBB1_299:                              ;   Parent Loop BB1_280 Depth=1
                                        ; =>  This Inner Loop Header: Depth=2
	v_add_co_u32 v16, vcc_lo, v14, s10
	v_add_co_ci_u32_e64 v17, null, s11, v15, vcc_lo
	s_add_u32 s10, s10, 1
	s_addc_u32 s11, s11, 0
	v_cmp_eq_u32_e32 vcc_lo, s10, v18
	global_load_ubyte v6, v[16:17], off
	v_mov_b32_e32 v17, s16
	s_waitcnt vmcnt(0)
	v_and_b32_e32 v16, 0xffff, v6
	v_lshlrev_b64 v[16:17], s4, v[16:17]
	s_add_u32 s4, s4, 8
	s_addc_u32 s5, s5, 0
	s_or_b32 s17, vcc_lo, s17
	v_or_b32_e32 v13, v17, v13
	v_or_b32_e32 v12, v16, v12
	s_andn2_b32 exec_lo, exec_lo, s17
	s_cbranch_execnz .LBB1_299
; %bb.300:                              ;   in Loop: Header=BB1_280 Depth=1
	s_or_b32 exec_lo, exec_lo, s17
.LBB1_301:                              ;   in Loop: Header=BB1_280 Depth=1
	s_or_b32 exec_lo, exec_lo, s13
	v_mov_b32_e32 v17, v15
	v_mov_b32_e32 v16, v14
                                        ; implicit-def: $vgpr18
.LBB1_302:                              ;   in Loop: Header=BB1_280 Depth=1
	s_or_saveexec_b32 s4, s12
	v_mov_b32_e32 v6, 0
	s_xor_b32 exec_lo, exec_lo, s4
	s_cbranch_execz .LBB1_304
; %bb.303:                              ;   in Loop: Header=BB1_280 Depth=1
	global_load_dwordx2 v[12:13], v[14:15], off
	v_add_nc_u32_e32 v6, -8, v18
.LBB1_304:                              ;   in Loop: Header=BB1_280 Depth=1
	s_or_b32 exec_lo, exec_lo, s4
	v_add_co_u32 v18, s4, v16, 8
	v_add_co_ci_u32_e64 v19, null, 0, v17, s4
                                        ; implicit-def: $vgpr14_vgpr15
	s_mov_b32 s4, exec_lo
	v_cmpx_gt_u32_e32 8, v6
	s_xor_b32 s12, exec_lo, s4
	s_cbranch_execz .LBB1_310
; %bb.305:                              ;   in Loop: Header=BB1_280 Depth=1
	v_mov_b32_e32 v14, 0
	v_mov_b32_e32 v15, 0
	s_mov_b32 s13, exec_lo
	v_cmpx_ne_u32_e32 0, v6
	s_cbranch_execz .LBB1_309
; %bb.306:                              ;   in Loop: Header=BB1_280 Depth=1
	v_mov_b32_e32 v14, 0
	v_mov_b32_e32 v15, 0
	s_mov_b64 s[4:5], 0
	s_mov_b32 s17, 0
	s_mov_b64 s[10:11], 0
	.p2align	6
.LBB1_307:                              ;   Parent Loop BB1_280 Depth=1
                                        ; =>  This Inner Loop Header: Depth=2
	v_add_co_u32 v18, vcc_lo, v16, s10
	v_add_co_ci_u32_e64 v19, null, s11, v17, vcc_lo
	s_add_u32 s10, s10, 1
	s_addc_u32 s11, s11, 0
	v_cmp_eq_u32_e32 vcc_lo, s10, v6
	global_load_ubyte v18, v[18:19], off
	v_mov_b32_e32 v19, s16
	s_waitcnt vmcnt(0)
	v_and_b32_e32 v18, 0xffff, v18
	v_lshlrev_b64 v[18:19], s4, v[18:19]
	s_add_u32 s4, s4, 8
	s_addc_u32 s5, s5, 0
	s_or_b32 s17, vcc_lo, s17
	v_or_b32_e32 v15, v19, v15
	v_or_b32_e32 v14, v18, v14
	s_andn2_b32 exec_lo, exec_lo, s17
	s_cbranch_execnz .LBB1_307
; %bb.308:                              ;   in Loop: Header=BB1_280 Depth=1
	s_or_b32 exec_lo, exec_lo, s17
.LBB1_309:                              ;   in Loop: Header=BB1_280 Depth=1
	s_or_b32 exec_lo, exec_lo, s13
	v_mov_b32_e32 v19, v17
	v_mov_b32_e32 v18, v16
                                        ; implicit-def: $vgpr6
.LBB1_310:                              ;   in Loop: Header=BB1_280 Depth=1
	s_or_saveexec_b32 s4, s12
	v_mov_b32_e32 v22, 0
	s_xor_b32 exec_lo, exec_lo, s4
	s_cbranch_execz .LBB1_312
; %bb.311:                              ;   in Loop: Header=BB1_280 Depth=1
	global_load_dwordx2 v[14:15], v[16:17], off
	v_add_nc_u32_e32 v22, -8, v6
.LBB1_312:                              ;   in Loop: Header=BB1_280 Depth=1
	s_or_b32 exec_lo, exec_lo, s4
	v_add_co_u32 v20, s4, v18, 8
	v_add_co_ci_u32_e64 v21, null, 0, v19, s4
	s_mov_b32 s4, exec_lo
	v_cmpx_gt_u32_e32 8, v22
	s_xor_b32 s12, exec_lo, s4
	s_cbranch_execz .LBB1_318
; %bb.313:                              ;   in Loop: Header=BB1_280 Depth=1
	v_mov_b32_e32 v16, 0
	v_mov_b32_e32 v17, 0
	s_mov_b32 s13, exec_lo
	v_cmpx_ne_u32_e32 0, v22
	s_cbranch_execz .LBB1_317
; %bb.314:                              ;   in Loop: Header=BB1_280 Depth=1
	v_mov_b32_e32 v16, 0
	v_mov_b32_e32 v17, 0
	s_mov_b64 s[4:5], 0
	s_mov_b32 s17, 0
	s_mov_b64 s[10:11], 0
	.p2align	6
.LBB1_315:                              ;   Parent Loop BB1_280 Depth=1
                                        ; =>  This Inner Loop Header: Depth=2
	v_add_co_u32 v20, vcc_lo, v18, s10
	v_add_co_ci_u32_e64 v21, null, s11, v19, vcc_lo
	s_add_u32 s10, s10, 1
	s_addc_u32 s11, s11, 0
	v_cmp_eq_u32_e32 vcc_lo, s10, v22
	global_load_ubyte v6, v[20:21], off
	v_mov_b32_e32 v21, s16
	s_waitcnt vmcnt(0)
	v_and_b32_e32 v20, 0xffff, v6
	v_lshlrev_b64 v[20:21], s4, v[20:21]
	s_add_u32 s4, s4, 8
	s_addc_u32 s5, s5, 0
	s_or_b32 s17, vcc_lo, s17
	v_or_b32_e32 v17, v21, v17
	v_or_b32_e32 v16, v20, v16
	s_andn2_b32 exec_lo, exec_lo, s17
	s_cbranch_execnz .LBB1_315
; %bb.316:                              ;   in Loop: Header=BB1_280 Depth=1
	s_or_b32 exec_lo, exec_lo, s17
.LBB1_317:                              ;   in Loop: Header=BB1_280 Depth=1
	s_or_b32 exec_lo, exec_lo, s13
	v_mov_b32_e32 v21, v19
	v_mov_b32_e32 v20, v18
                                        ; implicit-def: $vgpr22
.LBB1_318:                              ;   in Loop: Header=BB1_280 Depth=1
	s_or_saveexec_b32 s4, s12
	v_mov_b32_e32 v6, 0
	s_xor_b32 exec_lo, exec_lo, s4
	s_cbranch_execz .LBB1_320
; %bb.319:                              ;   in Loop: Header=BB1_280 Depth=1
	global_load_dwordx2 v[16:17], v[18:19], off
	v_add_nc_u32_e32 v6, -8, v22
.LBB1_320:                              ;   in Loop: Header=BB1_280 Depth=1
	s_or_b32 exec_lo, exec_lo, s4
	v_add_co_u32 v22, s4, v20, 8
	v_add_co_ci_u32_e64 v23, null, 0, v21, s4
                                        ; implicit-def: $vgpr18_vgpr19
	s_mov_b32 s4, exec_lo
	v_cmpx_gt_u32_e32 8, v6
	s_xor_b32 s12, exec_lo, s4
	s_cbranch_execz .LBB1_326
; %bb.321:                              ;   in Loop: Header=BB1_280 Depth=1
	v_mov_b32_e32 v18, 0
	v_mov_b32_e32 v19, 0
	s_mov_b32 s13, exec_lo
	v_cmpx_ne_u32_e32 0, v6
	s_cbranch_execz .LBB1_325
; %bb.322:                              ;   in Loop: Header=BB1_280 Depth=1
	v_mov_b32_e32 v18, 0
	v_mov_b32_e32 v19, 0
	s_mov_b64 s[4:5], 0
	s_mov_b32 s17, 0
	s_mov_b64 s[10:11], 0
	.p2align	6
.LBB1_323:                              ;   Parent Loop BB1_280 Depth=1
                                        ; =>  This Inner Loop Header: Depth=2
	v_add_co_u32 v22, vcc_lo, v20, s10
	v_add_co_ci_u32_e64 v23, null, s11, v21, vcc_lo
	s_add_u32 s10, s10, 1
	s_addc_u32 s11, s11, 0
	v_cmp_eq_u32_e32 vcc_lo, s10, v6
	global_load_ubyte v22, v[22:23], off
	v_mov_b32_e32 v23, s16
	s_waitcnt vmcnt(0)
	v_and_b32_e32 v22, 0xffff, v22
	v_lshlrev_b64 v[22:23], s4, v[22:23]
	s_add_u32 s4, s4, 8
	s_addc_u32 s5, s5, 0
	s_or_b32 s17, vcc_lo, s17
	v_or_b32_e32 v19, v23, v19
	v_or_b32_e32 v18, v22, v18
	s_andn2_b32 exec_lo, exec_lo, s17
	s_cbranch_execnz .LBB1_323
; %bb.324:                              ;   in Loop: Header=BB1_280 Depth=1
	s_or_b32 exec_lo, exec_lo, s17
.LBB1_325:                              ;   in Loop: Header=BB1_280 Depth=1
	s_or_b32 exec_lo, exec_lo, s13
	v_mov_b32_e32 v23, v21
	v_mov_b32_e32 v22, v20
                                        ; implicit-def: $vgpr6
.LBB1_326:                              ;   in Loop: Header=BB1_280 Depth=1
	s_or_saveexec_b32 s4, s12
	v_mov_b32_e32 v24, 0
	s_xor_b32 exec_lo, exec_lo, s4
	s_cbranch_execz .LBB1_328
; %bb.327:                              ;   in Loop: Header=BB1_280 Depth=1
	global_load_dwordx2 v[18:19], v[20:21], off
	v_add_nc_u32_e32 v24, -8, v6
.LBB1_328:                              ;   in Loop: Header=BB1_280 Depth=1
	s_or_b32 exec_lo, exec_lo, s4
	s_mov_b32 s4, exec_lo
	v_cmpx_gt_u32_e32 8, v24
	s_xor_b32 s10, exec_lo, s4
	s_cbranch_execz .LBB1_334
; %bb.329:                              ;   in Loop: Header=BB1_280 Depth=1
	v_mov_b32_e32 v20, 0
	v_mov_b32_e32 v21, 0
	s_mov_b32 s11, exec_lo
	v_cmpx_ne_u32_e32 0, v24
	s_cbranch_execz .LBB1_333
; %bb.330:                              ;   in Loop: Header=BB1_280 Depth=1
	v_mov_b32_e32 v20, 0
	v_mov_b32_e32 v21, 0
	s_mov_b64 s[4:5], 0
	s_mov_b32 s12, 0
	.p2align	6
.LBB1_331:                              ;   Parent Loop BB1_280 Depth=1
                                        ; =>  This Inner Loop Header: Depth=2
	global_load_ubyte v6, v[22:23], off
	v_mov_b32_e32 v31, s16
	v_add_nc_u32_e32 v24, -1, v24
	v_add_co_u32 v22, vcc_lo, v22, 1
	v_add_co_ci_u32_e64 v23, null, 0, v23, vcc_lo
	v_cmp_eq_u32_e32 vcc_lo, 0, v24
	s_waitcnt vmcnt(0)
	v_and_b32_e32 v30, 0xffff, v6
	v_lshlrev_b64 v[30:31], s4, v[30:31]
	s_add_u32 s4, s4, 8
	s_addc_u32 s5, s5, 0
	s_or_b32 s12, vcc_lo, s12
	v_or_b32_e32 v21, v31, v21
	v_or_b32_e32 v20, v30, v20
	s_andn2_b32 exec_lo, exec_lo, s12
	s_cbranch_execnz .LBB1_331
; %bb.332:                              ;   in Loop: Header=BB1_280 Depth=1
	s_or_b32 exec_lo, exec_lo, s12
.LBB1_333:                              ;   in Loop: Header=BB1_280 Depth=1
	s_or_b32 exec_lo, exec_lo, s11
                                        ; implicit-def: $vgpr22_vgpr23
.LBB1_334:                              ;   in Loop: Header=BB1_280 Depth=1
	s_andn2_saveexec_b32 s4, s10
	s_cbranch_execz .LBB1_336
; %bb.335:                              ;   in Loop: Header=BB1_280 Depth=1
	global_load_dwordx2 v[20:21], v[22:23], off
.LBB1_336:                              ;   in Loop: Header=BB1_280 Depth=1
	s_or_b32 exec_lo, exec_lo, s4
	v_readfirstlane_b32 s4, v32
	v_mov_b32_e32 v30, 0
	v_mov_b32_e32 v31, 0
	v_cmp_eq_u32_e64 s4, s4, v32
	s_and_saveexec_b32 s5, s4
	s_cbranch_execz .LBB1_342
; %bb.337:                              ;   in Loop: Header=BB1_280 Depth=1
	global_load_dwordx2 v[24:25], v7, s[6:7] offset:24 glc dlc
	s_waitcnt vmcnt(0)
	buffer_gl1_inv
	buffer_gl0_inv
	s_clause 0x1
	global_load_dwordx2 v[22:23], v7, s[6:7] offset:40
	global_load_dwordx2 v[30:31], v7, s[6:7]
	s_mov_b32 s10, exec_lo
	s_waitcnt vmcnt(1)
	v_and_b32_e32 v6, v23, v25
	v_and_b32_e32 v22, v22, v24
	v_mul_lo_u32 v6, v6, 24
	v_mul_hi_u32 v23, v22, 24
	v_mul_lo_u32 v22, v22, 24
	v_add_nc_u32_e32 v6, v23, v6
	s_waitcnt vmcnt(0)
	v_add_co_u32 v22, vcc_lo, v30, v22
	v_add_co_ci_u32_e64 v23, null, v31, v6, vcc_lo
	global_load_dwordx2 v[22:23], v[22:23], off glc dlc
	s_waitcnt vmcnt(0)
	global_atomic_cmpswap_x2 v[30:31], v7, v[22:25], s[6:7] offset:24 glc
	s_waitcnt vmcnt(0)
	buffer_gl1_inv
	buffer_gl0_inv
	v_cmpx_ne_u64_e64 v[30:31], v[24:25]
	s_cbranch_execz .LBB1_341
; %bb.338:                              ;   in Loop: Header=BB1_280 Depth=1
	s_mov_b32 s11, 0
	.p2align	6
.LBB1_339:                              ;   Parent Loop BB1_280 Depth=1
                                        ; =>  This Inner Loop Header: Depth=2
	s_sleep 1
	s_clause 0x1
	global_load_dwordx2 v[22:23], v7, s[6:7] offset:40
	global_load_dwordx2 v[35:36], v7, s[6:7]
	v_mov_b32_e32 v24, v30
	v_mov_b32_e32 v25, v31
	s_waitcnt vmcnt(1)
	v_and_b32_e32 v6, v22, v24
	v_and_b32_e32 v22, v23, v25
	s_waitcnt vmcnt(0)
	v_mad_u64_u32 v[30:31], null, v6, 24, v[35:36]
	v_mov_b32_e32 v6, v31
	v_mad_u64_u32 v[22:23], null, v22, 24, v[6:7]
	v_mov_b32_e32 v31, v22
	global_load_dwordx2 v[22:23], v[30:31], off glc dlc
	s_waitcnt vmcnt(0)
	global_atomic_cmpswap_x2 v[30:31], v7, v[22:25], s[6:7] offset:24 glc
	s_waitcnt vmcnt(0)
	buffer_gl1_inv
	buffer_gl0_inv
	v_cmp_eq_u64_e32 vcc_lo, v[30:31], v[24:25]
	s_or_b32 s11, vcc_lo, s11
	s_andn2_b32 exec_lo, exec_lo, s11
	s_cbranch_execnz .LBB1_339
; %bb.340:                              ;   in Loop: Header=BB1_280 Depth=1
	s_or_b32 exec_lo, exec_lo, s11
.LBB1_341:                              ;   in Loop: Header=BB1_280 Depth=1
	s_or_b32 exec_lo, exec_lo, s10
.LBB1_342:                              ;   in Loop: Header=BB1_280 Depth=1
	s_or_b32 exec_lo, exec_lo, s5
	s_clause 0x1
	global_load_dwordx2 v[35:36], v7, s[6:7] offset:40
	global_load_dwordx4 v[22:25], v7, s[6:7]
	v_readfirstlane_b32 s11, v31
	v_readfirstlane_b32 s10, v30
	s_mov_b32 s5, exec_lo
	s_waitcnt vmcnt(1)
	v_readfirstlane_b32 s12, v35
	v_readfirstlane_b32 s13, v36
	s_and_b64 s[12:13], s[12:13], s[10:11]
	s_mul_i32 s17, s13, 24
	s_mul_hi_u32 s18, s12, 24
	s_mul_i32 s19, s12, 24
	s_add_i32 s18, s18, s17
	s_waitcnt vmcnt(0)
	v_add_co_u32 v30, vcc_lo, v22, s19
	v_add_co_ci_u32_e64 v31, null, s18, v23, vcc_lo
	s_and_saveexec_b32 s17, s4
	s_cbranch_execz .LBB1_344
; %bb.343:                              ;   in Loop: Header=BB1_280 Depth=1
	v_mov_b32_e32 v6, s5
	global_store_dwordx4 v[30:31], v[6:9], off offset:8
.LBB1_344:                              ;   in Loop: Header=BB1_280 Depth=1
	s_or_b32 exec_lo, exec_lo, s17
	v_cmp_gt_u64_e32 vcc_lo, 57, v[26:27]
	s_lshl_b64 s[12:13], s[12:13], 12
	v_and_b32_e32 v0, 0xffffff1f, v0
	v_lshl_add_u32 v35, v28, 2, 28
	v_cndmask_b32_e32 v6, 0, v34, vcc_lo
	v_add_co_u32 v24, vcc_lo, v24, s12
	v_add_co_ci_u32_e64 v25, null, s13, v25, vcc_lo
	v_or_b32_e32 v0, v0, v6
	v_readfirstlane_b32 s12, v24
	v_readfirstlane_b32 s13, v25
	v_and_or_b32 v0, 0x1e0, v35, v0
	global_store_dwordx4 v33, v[10:13], s[12:13] offset:16
	global_store_dwordx4 v33, v[14:17], s[12:13] offset:32
	global_store_dwordx4 v33, v[0:3], s[12:13]
	global_store_dwordx4 v33, v[18:21], s[12:13] offset:48
	s_and_saveexec_b32 s5, s4
	s_cbranch_execz .LBB1_352
; %bb.345:                              ;   in Loop: Header=BB1_280 Depth=1
	s_clause 0x1
	global_load_dwordx2 v[14:15], v7, s[6:7] offset:32 glc dlc
	global_load_dwordx2 v[0:1], v7, s[6:7] offset:40
	v_mov_b32_e32 v12, s10
	v_mov_b32_e32 v13, s11
	s_waitcnt vmcnt(0)
	v_readfirstlane_b32 s12, v0
	v_readfirstlane_b32 s13, v1
	s_and_b64 s[12:13], s[12:13], s[10:11]
	s_mul_i32 s13, s13, 24
	s_mul_hi_u32 s17, s12, 24
	s_mul_i32 s12, s12, 24
	s_add_i32 s17, s17, s13
	v_add_co_u32 v10, vcc_lo, v22, s12
	v_add_co_ci_u32_e64 v11, null, s17, v23, vcc_lo
	s_mov_b32 s12, exec_lo
	global_store_dwordx2 v[10:11], v[14:15], off
	s_waitcnt_vscnt null, 0x0
	global_atomic_cmpswap_x2 v[2:3], v7, v[12:15], s[6:7] offset:32 glc
	s_waitcnt vmcnt(0)
	v_cmpx_ne_u64_e64 v[2:3], v[14:15]
	s_cbranch_execz .LBB1_348
; %bb.346:                              ;   in Loop: Header=BB1_280 Depth=1
	s_mov_b32 s13, 0
.LBB1_347:                              ;   Parent Loop BB1_280 Depth=1
                                        ; =>  This Inner Loop Header: Depth=2
	v_mov_b32_e32 v0, s10
	v_mov_b32_e32 v1, s11
	s_sleep 1
	global_store_dwordx2 v[10:11], v[2:3], off
	s_waitcnt_vscnt null, 0x0
	global_atomic_cmpswap_x2 v[0:1], v7, v[0:3], s[6:7] offset:32 glc
	s_waitcnt vmcnt(0)
	v_cmp_eq_u64_e32 vcc_lo, v[0:1], v[2:3]
	v_mov_b32_e32 v3, v1
	v_mov_b32_e32 v2, v0
	s_or_b32 s13, vcc_lo, s13
	s_andn2_b32 exec_lo, exec_lo, s13
	s_cbranch_execnz .LBB1_347
.LBB1_348:                              ;   in Loop: Header=BB1_280 Depth=1
	s_or_b32 exec_lo, exec_lo, s12
	global_load_dwordx2 v[0:1], v7, s[6:7] offset:16
	s_mov_b32 s13, exec_lo
	s_mov_b32 s12, exec_lo
	v_mbcnt_lo_u32_b32 v2, s13, 0
	v_cmpx_eq_u32_e32 0, v2
	s_cbranch_execz .LBB1_350
; %bb.349:                              ;   in Loop: Header=BB1_280 Depth=1
	s_bcnt1_i32_b32 s13, s13
	v_mov_b32_e32 v6, s13
	s_waitcnt vmcnt(0)
	global_atomic_add_x2 v[0:1], v[6:7], off offset:8
.LBB1_350:                              ;   in Loop: Header=BB1_280 Depth=1
	s_or_b32 exec_lo, exec_lo, s12
	s_waitcnt vmcnt(0)
	global_load_dwordx2 v[2:3], v[0:1], off offset:16
	s_waitcnt vmcnt(0)
	v_cmp_eq_u64_e32 vcc_lo, 0, v[2:3]
	s_cbranch_vccnz .LBB1_352
; %bb.351:                              ;   in Loop: Header=BB1_280 Depth=1
	global_load_dword v6, v[0:1], off offset:24
	s_waitcnt vmcnt(0)
	v_readfirstlane_b32 s12, v6
	s_waitcnt_vscnt null, 0x0
	global_store_dwordx2 v[2:3], v[6:7], off
	s_and_b32 m0, s12, 0x7fffff
	s_sendmsg sendmsg(MSG_INTERRUPT)
.LBB1_352:                              ;   in Loop: Header=BB1_280 Depth=1
	s_or_b32 exec_lo, exec_lo, s5
	v_add_co_u32 v0, vcc_lo, v24, v33
	v_add_co_ci_u32_e64 v1, null, 0, v25, vcc_lo
	s_branch .LBB1_356
	.p2align	6
.LBB1_353:                              ;   in Loop: Header=BB1_356 Depth=2
	s_or_b32 exec_lo, exec_lo, s5
	v_readfirstlane_b32 s5, v2
	s_cmp_eq_u32 s5, 0
	s_cbranch_scc1 .LBB1_355
; %bb.354:                              ;   in Loop: Header=BB1_356 Depth=2
	s_sleep 1
	s_cbranch_execnz .LBB1_356
	s_branch .LBB1_358
	.p2align	6
.LBB1_355:                              ;   in Loop: Header=BB1_280 Depth=1
	s_branch .LBB1_358
.LBB1_356:                              ;   Parent Loop BB1_280 Depth=1
                                        ; =>  This Inner Loop Header: Depth=2
	v_mov_b32_e32 v2, 1
	s_and_saveexec_b32 s5, s4
	s_cbranch_execz .LBB1_353
; %bb.357:                              ;   in Loop: Header=BB1_356 Depth=2
	global_load_dword v2, v[30:31], off offset:20 glc dlc
	s_waitcnt vmcnt(0)
	buffer_gl1_inv
	buffer_gl0_inv
	v_and_b32_e32 v2, 1, v2
	s_branch .LBB1_353
.LBB1_358:                              ;   in Loop: Header=BB1_280 Depth=1
	global_load_dwordx2 v[0:1], v[0:1], off
	s_and_saveexec_b32 s12, s4
	s_cbranch_execz .LBB1_279
; %bb.359:                              ;   in Loop: Header=BB1_280 Depth=1
	s_clause 0x2
	global_load_dwordx2 v[2:3], v7, s[6:7] offset:40
	global_load_dwordx2 v[14:15], v7, s[6:7] offset:24 glc dlc
	global_load_dwordx2 v[10:11], v7, s[6:7]
	s_waitcnt vmcnt(2)
	v_readfirstlane_b32 s18, v2
	v_readfirstlane_b32 s19, v3
	s_add_u32 s13, s18, 1
	s_addc_u32 s17, s19, 0
	s_add_u32 s4, s13, s10
	s_addc_u32 s5, s17, s11
	s_cmp_eq_u64 s[4:5], 0
	s_cselect_b32 s5, s17, s5
	s_cselect_b32 s4, s13, s4
	v_mov_b32_e32 v13, s5
	s_and_b64 s[10:11], s[4:5], s[18:19]
	v_mov_b32_e32 v12, s4
	s_mul_i32 s11, s11, 24
	s_mul_hi_u32 s13, s10, 24
	s_mul_i32 s10, s10, 24
	s_add_i32 s13, s13, s11
	s_waitcnt vmcnt(0)
	v_add_co_u32 v2, vcc_lo, v10, s10
	v_add_co_ci_u32_e64 v3, null, s13, v11, vcc_lo
	global_store_dwordx2 v[2:3], v[14:15], off
	s_waitcnt_vscnt null, 0x0
	global_atomic_cmpswap_x2 v[12:13], v7, v[12:15], s[6:7] offset:24 glc
	s_waitcnt vmcnt(0)
	v_cmp_ne_u64_e32 vcc_lo, v[12:13], v[14:15]
	s_and_b32 exec_lo, exec_lo, vcc_lo
	s_cbranch_execz .LBB1_279
; %bb.360:                              ;   in Loop: Header=BB1_280 Depth=1
	s_mov_b32 s10, 0
.LBB1_361:                              ;   Parent Loop BB1_280 Depth=1
                                        ; =>  This Inner Loop Header: Depth=2
	v_mov_b32_e32 v10, s4
	v_mov_b32_e32 v11, s5
	s_sleep 1
	global_store_dwordx2 v[2:3], v[12:13], off
	s_waitcnt_vscnt null, 0x0
	global_atomic_cmpswap_x2 v[10:11], v7, v[10:13], s[6:7] offset:24 glc
	s_waitcnt vmcnt(0)
	v_cmp_eq_u64_e32 vcc_lo, v[10:11], v[12:13]
	v_mov_b32_e32 v13, v11
	v_mov_b32_e32 v12, v10
	s_or_b32 s10, vcc_lo, s10
	s_andn2_b32 exec_lo, exec_lo, s10
	s_cbranch_execnz .LBB1_361
	s_branch .LBB1_279
.LBB1_362:
	s_or_b32 exec_lo, exec_lo, s15
                                        ; implicit-def: $vgpr33
                                        ; implicit-def: $vgpr32
.LBB1_363:
	s_andn2_saveexec_b32 s14, s14
	s_cbranch_execz .LBB1_391
; %bb.364:
	v_readfirstlane_b32 s4, v32
	v_mov_b32_e32 v8, 0
	v_mov_b32_e32 v9, 0
	v_cmp_eq_u32_e64 s4, s4, v32
	s_and_saveexec_b32 s5, s4
	s_cbranch_execz .LBB1_370
; %bb.365:
	v_mov_b32_e32 v2, 0
	s_mov_b32 s10, exec_lo
	global_load_dwordx2 v[5:6], v2, s[6:7] offset:24 glc dlc
	s_waitcnt vmcnt(0)
	buffer_gl1_inv
	buffer_gl0_inv
	s_clause 0x1
	global_load_dwordx2 v[3:4], v2, s[6:7] offset:40
	global_load_dwordx2 v[7:8], v2, s[6:7]
	s_waitcnt vmcnt(1)
	v_and_b32_e32 v4, v4, v6
	v_and_b32_e32 v3, v3, v5
	v_mul_lo_u32 v4, v4, 24
	v_mul_hi_u32 v9, v3, 24
	v_mul_lo_u32 v3, v3, 24
	v_add_nc_u32_e32 v4, v9, v4
	s_waitcnt vmcnt(0)
	v_add_co_u32 v3, vcc_lo, v7, v3
	v_add_co_ci_u32_e64 v4, null, v8, v4, vcc_lo
	global_load_dwordx2 v[3:4], v[3:4], off glc dlc
	s_waitcnt vmcnt(0)
	global_atomic_cmpswap_x2 v[8:9], v2, v[3:6], s[6:7] offset:24 glc
	s_waitcnt vmcnt(0)
	buffer_gl1_inv
	buffer_gl0_inv
	v_cmpx_ne_u64_e64 v[8:9], v[5:6]
	s_cbranch_execz .LBB1_369
; %bb.366:
	s_mov_b32 s11, 0
	.p2align	6
.LBB1_367:                              ; =>This Inner Loop Header: Depth=1
	s_sleep 1
	s_clause 0x1
	global_load_dwordx2 v[3:4], v2, s[6:7] offset:40
	global_load_dwordx2 v[10:11], v2, s[6:7]
	v_mov_b32_e32 v5, v8
	v_mov_b32_e32 v6, v9
	s_waitcnt vmcnt(1)
	v_and_b32_e32 v3, v3, v5
	v_and_b32_e32 v4, v4, v6
	s_waitcnt vmcnt(0)
	v_mad_u64_u32 v[7:8], null, v3, 24, v[10:11]
	v_mov_b32_e32 v3, v8
	v_mad_u64_u32 v[3:4], null, v4, 24, v[3:4]
	v_mov_b32_e32 v8, v3
	global_load_dwordx2 v[3:4], v[7:8], off glc dlc
	s_waitcnt vmcnt(0)
	global_atomic_cmpswap_x2 v[8:9], v2, v[3:6], s[6:7] offset:24 glc
	s_waitcnt vmcnt(0)
	buffer_gl1_inv
	buffer_gl0_inv
	v_cmp_eq_u64_e32 vcc_lo, v[8:9], v[5:6]
	s_or_b32 s11, vcc_lo, s11
	s_andn2_b32 exec_lo, exec_lo, s11
	s_cbranch_execnz .LBB1_367
; %bb.368:
	s_or_b32 exec_lo, exec_lo, s11
.LBB1_369:
	s_or_b32 exec_lo, exec_lo, s10
.LBB1_370:
	s_or_b32 exec_lo, exec_lo, s5
	v_mov_b32_e32 v2, 0
	v_readfirstlane_b32 s11, v9
	v_readfirstlane_b32 s10, v8
	s_mov_b32 s5, exec_lo
	s_clause 0x1
	global_load_dwordx2 v[10:11], v2, s[6:7] offset:40
	global_load_dwordx4 v[4:7], v2, s[6:7]
	s_waitcnt vmcnt(1)
	v_readfirstlane_b32 s12, v10
	v_readfirstlane_b32 s13, v11
	s_and_b64 s[12:13], s[12:13], s[10:11]
	s_mul_i32 s15, s13, 24
	s_mul_hi_u32 s16, s12, 24
	s_mul_i32 s17, s12, 24
	s_add_i32 s16, s16, s15
	s_waitcnt vmcnt(0)
	v_add_co_u32 v8, vcc_lo, v4, s17
	v_add_co_ci_u32_e64 v9, null, s16, v5, vcc_lo
	s_and_saveexec_b32 s15, s4
	s_cbranch_execz .LBB1_372
; %bb.371:
	v_mov_b32_e32 v10, s5
	v_mov_b32_e32 v11, v2
	;; [unrolled: 1-line block ×4, first 2 shown]
	global_store_dwordx4 v[8:9], v[10:13], off offset:8
.LBB1_372:
	s_or_b32 exec_lo, exec_lo, s15
	s_lshl_b64 s[12:13], s[12:13], 12
	s_mov_b32 s16, 0
	v_add_co_u32 v6, vcc_lo, v6, s12
	v_add_co_ci_u32_e64 v7, null, s13, v7, vcc_lo
	s_mov_b32 s17, s16
	v_readfirstlane_b32 s12, v6
	v_add_co_u32 v6, vcc_lo, v6, v33
	s_mov_b32 s18, s16
	s_mov_b32 s19, s16
	v_and_or_b32 v0, 0xffffff1f, v0, 32
	v_mov_b32_e32 v3, v2
	v_readfirstlane_b32 s13, v7
	v_mov_b32_e32 v10, s16
	v_add_co_ci_u32_e64 v7, null, 0, v7, vcc_lo
	v_mov_b32_e32 v11, s17
	v_mov_b32_e32 v12, s18
	;; [unrolled: 1-line block ×3, first 2 shown]
	global_store_dwordx4 v33, v[0:3], s[12:13]
	global_store_dwordx4 v33, v[10:13], s[12:13] offset:16
	global_store_dwordx4 v33, v[10:13], s[12:13] offset:32
	;; [unrolled: 1-line block ×3, first 2 shown]
	s_and_saveexec_b32 s5, s4
	s_cbranch_execz .LBB1_380
; %bb.373:
	v_mov_b32_e32 v10, 0
	v_mov_b32_e32 v11, s10
	;; [unrolled: 1-line block ×3, first 2 shown]
	s_clause 0x1
	global_load_dwordx2 v[13:14], v10, s[6:7] offset:32 glc dlc
	global_load_dwordx2 v[0:1], v10, s[6:7] offset:40
	s_waitcnt vmcnt(0)
	v_readfirstlane_b32 s12, v0
	v_readfirstlane_b32 s13, v1
	s_and_b64 s[12:13], s[12:13], s[10:11]
	s_mul_i32 s13, s13, 24
	s_mul_hi_u32 s15, s12, 24
	s_mul_i32 s12, s12, 24
	s_add_i32 s15, s15, s13
	v_add_co_u32 v4, vcc_lo, v4, s12
	v_add_co_ci_u32_e64 v5, null, s15, v5, vcc_lo
	s_mov_b32 s12, exec_lo
	global_store_dwordx2 v[4:5], v[13:14], off
	s_waitcnt_vscnt null, 0x0
	global_atomic_cmpswap_x2 v[2:3], v10, v[11:14], s[6:7] offset:32 glc
	s_waitcnt vmcnt(0)
	v_cmpx_ne_u64_e64 v[2:3], v[13:14]
	s_cbranch_execz .LBB1_376
; %bb.374:
	s_mov_b32 s13, 0
.LBB1_375:                              ; =>This Inner Loop Header: Depth=1
	v_mov_b32_e32 v0, s10
	v_mov_b32_e32 v1, s11
	s_sleep 1
	global_store_dwordx2 v[4:5], v[2:3], off
	s_waitcnt_vscnt null, 0x0
	global_atomic_cmpswap_x2 v[0:1], v10, v[0:3], s[6:7] offset:32 glc
	s_waitcnt vmcnt(0)
	v_cmp_eq_u64_e32 vcc_lo, v[0:1], v[2:3]
	v_mov_b32_e32 v3, v1
	v_mov_b32_e32 v2, v0
	s_or_b32 s13, vcc_lo, s13
	s_andn2_b32 exec_lo, exec_lo, s13
	s_cbranch_execnz .LBB1_375
.LBB1_376:
	s_or_b32 exec_lo, exec_lo, s12
	v_mov_b32_e32 v3, 0
	s_mov_b32 s13, exec_lo
	s_mov_b32 s12, exec_lo
	v_mbcnt_lo_u32_b32 v2, s13, 0
	global_load_dwordx2 v[0:1], v3, s[6:7] offset:16
	v_cmpx_eq_u32_e32 0, v2
	s_cbranch_execz .LBB1_378
; %bb.377:
	s_bcnt1_i32_b32 s13, s13
	v_mov_b32_e32 v2, s13
	s_waitcnt vmcnt(0)
	global_atomic_add_x2 v[0:1], v[2:3], off offset:8
.LBB1_378:
	s_or_b32 exec_lo, exec_lo, s12
	s_waitcnt vmcnt(0)
	global_load_dwordx2 v[2:3], v[0:1], off offset:16
	s_waitcnt vmcnt(0)
	v_cmp_eq_u64_e32 vcc_lo, 0, v[2:3]
	s_cbranch_vccnz .LBB1_380
; %bb.379:
	global_load_dword v0, v[0:1], off offset:24
	v_mov_b32_e32 v1, 0
	s_waitcnt vmcnt(0)
	v_readfirstlane_b32 s12, v0
	s_waitcnt_vscnt null, 0x0
	global_store_dwordx2 v[2:3], v[0:1], off
	s_and_b32 m0, s12, 0x7fffff
	s_sendmsg sendmsg(MSG_INTERRUPT)
.LBB1_380:
	s_or_b32 exec_lo, exec_lo, s5
	s_branch .LBB1_384
	.p2align	6
.LBB1_381:                              ;   in Loop: Header=BB1_384 Depth=1
	s_or_b32 exec_lo, exec_lo, s5
	v_readfirstlane_b32 s5, v0
	s_cmp_eq_u32 s5, 0
	s_cbranch_scc1 .LBB1_383
; %bb.382:                              ;   in Loop: Header=BB1_384 Depth=1
	s_sleep 1
	s_cbranch_execnz .LBB1_384
	s_branch .LBB1_386
	.p2align	6
.LBB1_383:
	s_branch .LBB1_386
.LBB1_384:                              ; =>This Inner Loop Header: Depth=1
	v_mov_b32_e32 v0, 1
	s_and_saveexec_b32 s5, s4
	s_cbranch_execz .LBB1_381
; %bb.385:                              ;   in Loop: Header=BB1_384 Depth=1
	global_load_dword v0, v[8:9], off offset:20 glc dlc
	s_waitcnt vmcnt(0)
	buffer_gl1_inv
	buffer_gl0_inv
	v_and_b32_e32 v0, 1, v0
	s_branch .LBB1_381
.LBB1_386:
	global_load_dwordx2 v[0:1], v[6:7], off
	s_and_saveexec_b32 s12, s4
	s_cbranch_execz .LBB1_390
; %bb.387:
	v_mov_b32_e32 v8, 0
	s_clause 0x2
	global_load_dwordx2 v[2:3], v8, s[6:7] offset:40
	global_load_dwordx2 v[11:12], v8, s[6:7] offset:24 glc dlc
	global_load_dwordx2 v[4:5], v8, s[6:7]
	s_waitcnt vmcnt(2)
	v_readfirstlane_b32 s16, v2
	v_readfirstlane_b32 s17, v3
	s_add_u32 s13, s16, 1
	s_addc_u32 s15, s17, 0
	s_add_u32 s4, s13, s10
	s_addc_u32 s5, s15, s11
	s_cmp_eq_u64 s[4:5], 0
	s_cselect_b32 s5, s15, s5
	s_cselect_b32 s4, s13, s4
	v_mov_b32_e32 v10, s5
	s_and_b64 s[10:11], s[4:5], s[16:17]
	v_mov_b32_e32 v9, s4
	s_mul_i32 s11, s11, 24
	s_mul_hi_u32 s13, s10, 24
	s_mul_i32 s10, s10, 24
	s_add_i32 s13, s13, s11
	s_waitcnt vmcnt(0)
	v_add_co_u32 v6, vcc_lo, v4, s10
	v_add_co_ci_u32_e64 v7, null, s13, v5, vcc_lo
	global_store_dwordx2 v[6:7], v[11:12], off
	s_waitcnt_vscnt null, 0x0
	global_atomic_cmpswap_x2 v[4:5], v8, v[9:12], s[6:7] offset:24 glc
	s_waitcnt vmcnt(0)
	v_cmp_ne_u64_e32 vcc_lo, v[4:5], v[11:12]
	s_and_b32 exec_lo, exec_lo, vcc_lo
	s_cbranch_execz .LBB1_390
; %bb.388:
	s_mov_b32 s10, 0
.LBB1_389:                              ; =>This Inner Loop Header: Depth=1
	v_mov_b32_e32 v2, s4
	v_mov_b32_e32 v3, s5
	s_sleep 1
	global_store_dwordx2 v[6:7], v[4:5], off
	s_waitcnt_vscnt null, 0x0
	global_atomic_cmpswap_x2 v[2:3], v8, v[2:5], s[6:7] offset:24 glc
	s_waitcnt vmcnt(0)
	v_cmp_eq_u64_e32 vcc_lo, v[2:3], v[4:5]
	v_mov_b32_e32 v5, v3
	v_mov_b32_e32 v4, v2
	s_or_b32 s10, vcc_lo, s10
	s_andn2_b32 exec_lo, exec_lo, s10
	s_cbranch_execnz .LBB1_389
.LBB1_390:
	s_or_b32 exec_lo, exec_lo, s12
.LBB1_391:
	s_or_b32 exec_lo, exec_lo, s14
	s_getpc_b64 s[4:5]
	s_add_u32 s4, s4, .str.3@rel32@lo+4
	s_addc_u32 s5, s5, .str.3@rel32@hi+12
	s_getpc_b64 s[6:7]
	s_add_u32 s6, s6, .str.3@rel32@lo+32
	s_addc_u32 s7, s7, .str.3@rel32@hi+40
	s_sub_i32 s10, s6, s4
	s_getpc_b64 s[6:7]
	s_add_u32 s6, s6, __ockl_fprintf_append_string_n@rel32@lo+4
	s_addc_u32 s7, s7, __ockl_fprintf_append_string_n@rel32@hi+12
	s_ashr_i32 s11, s10, 31
	v_mov_b32_e32 v2, s4
	v_mov_b32_e32 v3, s5
	;; [unrolled: 1-line block ×5, first 2 shown]
	s_swappc_b64 s[30:31], s[6:7]
	s_trap 2
.Lfunc_end1:
	.size	__assert_fail, .Lfunc_end1-__assert_fail
                                        ; -- End function
	.set .L__assert_fail.num_vgpr, max(40, .L__ockl_fprintf_append_string_n.num_vgpr)
	.set .L__assert_fail.num_agpr, max(0, .L__ockl_fprintf_append_string_n.num_agpr)
	.set .L__assert_fail.numbered_sgpr, max(34, .L__ockl_fprintf_append_string_n.numbered_sgpr)
	.set .L__assert_fail.num_named_barrier, max(0, .L__ockl_fprintf_append_string_n.num_named_barrier)
	.set .L__assert_fail.private_seg_size, 64+max(.L__ockl_fprintf_append_string_n.private_seg_size)
	.set .L__assert_fail.uses_vcc, or(1, .L__ockl_fprintf_append_string_n.uses_vcc)
	.set .L__assert_fail.uses_flat_scratch, or(0, .L__ockl_fprintf_append_string_n.uses_flat_scratch)
	.set .L__assert_fail.has_dyn_sized_stack, or(0, .L__ockl_fprintf_append_string_n.has_dyn_sized_stack)
	.set .L__assert_fail.has_recursion, or(0, .L__ockl_fprintf_append_string_n.has_recursion)
	.set .L__assert_fail.has_indirect_call, or(0, .L__ockl_fprintf_append_string_n.has_indirect_call)
	.section	.AMDGPU.csdata,"",@progbits
; Function info:
; codeLenInByte = 15432
; TotalNumSgprs: 36
; NumVgprs: 40
; ScratchSize: 64
; MemoryBound: 0
	.text
	.p2align	2                               ; -- Begin function _ZN12_GLOBAL__N_17runRingIa7FuncSumIaE11ProtoSimpleILi2ELi2ELi0ELi1ELi0ELi0EELi0ELi1ELi0EEEviiP15ncclDevWorkColl
	.type	_ZN12_GLOBAL__N_17runRingIa7FuncSumIaE11ProtoSimpleILi2ELi2ELi0ELi1ELi0ELi0EELi0ELi1ELi0EEEviiP15ncclDevWorkColl,@function
_ZN12_GLOBAL__N_17runRingIa7FuncSumIaE11ProtoSimpleILi2ELi2ELi0ELi1ELi0ELi0EELi0ELi1ELi0EEEviiP15ncclDevWorkColl: ; @_ZN12_GLOBAL__N_17runRingIa7FuncSumIaE11ProtoSimpleILi2ELi2ELi0ELi1ELi0ELi0EELi0ELi1ELi0EEEviiP15ncclDevWorkColl
; %bb.0:
	s_waitcnt vmcnt(0) expcnt(0) lgkmcnt(0)
	s_mov_b32 s74, s33
	s_mov_b32 s33, s32
	s_or_saveexec_b32 s4, -1
	buffer_store_dword v72, off, s[0:3], s33 offset:64 ; 4-byte Folded Spill
	s_mov_b32 exec_lo, s4
	s_addk_i32 s32, 0xa00
	buffer_store_dword v40, off, s[0:3], s33 offset:60 ; 4-byte Folded Spill
	buffer_store_dword v41, off, s[0:3], s33 offset:56 ; 4-byte Folded Spill
	;; [unrolled: 1-line block ×15, first 2 shown]
	buffer_store_dword v63, off, s[0:3], s33 ; 4-byte Folded Spill
	v_writelane_b32 v72, s30, 0
	v_writelane_b32 v72, s31, 1
	s_trap 2
	s_clause 0x2
	flat_load_dword v10, v[2:3]
	flat_load_dwordx4 v[4:7], v[2:3] offset:72
	flat_load_dwordx2 v[8:9], v[2:3] offset:88
	ds_read_b32 v14, v0
	s_mov_b32 s4, exec_lo
                                        ; implicit-def: $vgpr24_vgpr25
	s_waitcnt lgkmcnt(0)
	v_readfirstlane_b32 s18, v14
	s_waitcnt vmcnt(2)
	v_and_b32_e32 v12, 0xff, v10
	v_bfe_u32 v13, v10, 8, 8
	v_cmpx_ne_u32_e64 v14, v12
	s_xor_b32 s4, exec_lo, s4
	s_cbranch_execz .LBB2_6
; %bb.1:
	flat_load_dwordx2 v[10:11], v[2:3] offset:96
	s_mov_b32 s5, exec_lo
                                        ; implicit-def: $vgpr24_vgpr25
	v_cmpx_ne_u32_e64 v14, v13
	s_xor_b32 s5, exec_lo, s5
	s_cbranch_execz .LBB2_3
; %bb.2:
	s_waitcnt vmcnt(0) lgkmcnt(0)
	v_lshrrev_b64 v[24:25], 12, v[10:11]
                                        ; implicit-def: $vgpr10_vgpr11
.LBB2_3:
	s_andn2_saveexec_b32 s5, s5
	s_cbranch_execz .LBB2_5
; %bb.4:
	s_waitcnt vmcnt(0) lgkmcnt(0)
	v_lshrrev_b32_e32 v24, 1, v11
.LBB2_5:
	s_or_b32 exec_lo, exec_lo, s5
.LBB2_6:
	s_andn2_saveexec_b32 s4, s4
	s_cbranch_execz .LBB2_8
; %bb.7:
	s_waitcnt vmcnt(0) lgkmcnt(0)
	flat_load_dwordx2 v[10:11], v[2:3] offset:96
	s_waitcnt vmcnt(0) lgkmcnt(0)
	v_lshlrev_b64 v[24:25], 9, v[10:11]
.LBB2_8:
	s_or_b32 exec_lo, exec_lo, s4
	s_waitcnt vmcnt(0) lgkmcnt(0)
	flat_load_ushort v10, v[2:3] offset:8
	v_xad_u32 v11, v12, -1, v13
                                        ; implicit-def: $vgpr27_vgpr28
	v_ashrrev_i32_e32 v15, 31, v11
	v_mul_lo_u32 v7, v7, v11
	v_mad_u64_u32 v[4:5], null, v6, v11, v[4:5]
	v_mul_lo_u32 v6, v6, v15
	v_add_co_u32 v30, vcc_lo, v4, v8
	v_add3_u32 v5, v7, v5, v6
	v_add_co_ci_u32_e64 v86, null, v5, v9, vcc_lo
	v_sub_co_u32 v6, vcc_lo, 0, v30
	v_sub_co_ci_u32_e64 v4, null, 0, v86, vcc_lo
	v_and_b32_e32 v6, v30, v6
	v_and_b32_e32 v4, v86, v4
	v_cvt_f64_u32_e32 v[6:7], v6
	v_cvt_f64_u32_e32 v[4:5], v4
	v_ldexp_f64 v[4:5], v[4:5], 32
	v_add_f64 v[4:5], v[4:5], v[6:7]
	v_min_f64 v[4:5], 0x40700000, v[4:5]
	v_cvt_i32_f64_e32 v52, v[4:5]
	v_ashrrev_i32_e32 v53, 31, v52
	v_or_b32_e32 v5, v86, v53
	s_waitcnt vmcnt(0) lgkmcnt(0)
	v_lshrrev_b32_e32 v32, 1, v10
	v_lshlrev_b32_e32 v6, 1, v32
	v_sub_nc_u32_e32 v7, 0, v6
	v_max_i32_e32 v8, v6, v7
	v_cvt_f32_u32_e32 v7, v8
	v_rcp_iflag_f32_e32 v7, v7
	v_mul_f32_e32 v4, 0x4f7ffffe, v7
	v_sub_nc_u32_e32 v7, v14, v12
	v_cvt_u32_f32_e32 v9, v4
	v_sub_nc_u32_e32 v4, 0, v8
	v_sub_nc_u32_e32 v10, 0, v7
	v_mul_lo_u32 v4, v4, v9
	v_max_i32_e32 v33, v7, v10
	v_mul_hi_u32 v11, v9, v4
	v_mov_b32_e32 v4, 0
	v_cmp_ne_u64_e32 vcc_lo, 0, v[4:5]
	v_add_nc_u32_e32 v4, v9, v11
	s_and_saveexec_b32 s4, vcc_lo
	s_xor_b32 s5, exec_lo, s4
	s_cbranch_execz .LBB2_10
; %bb.9:
	v_cvt_f32_u32_e32 v5, v52
	v_cvt_f32_u32_e32 v9, v53
	v_sub_co_u32 v18, vcc_lo, 0, v52
	v_sub_co_ci_u32_e64 v19, null, 0, v53, vcc_lo
	v_fmamk_f32 v5, v9, 0x4f800000, v5
	v_rcp_f32_e32 v5, v5
	v_mul_f32_e32 v5, 0x5f7ffffc, v5
	v_mul_f32_e32 v9, 0x2f800000, v5
	v_trunc_f32_e32 v9, v9
	v_fmamk_f32 v5, v9, 0xcf800000, v5
	v_cvt_u32_f32_e32 v20, v9
	v_cvt_u32_f32_e32 v5, v5
	v_mul_lo_u32 v11, v18, v20
	v_mul_lo_u32 v14, v19, v5
	v_mad_u64_u32 v[9:10], null, v18, v5, 0
	v_add3_u32 v16, v10, v11, v14
	v_mul_hi_u32 v21, v5, v9
	v_mad_u64_u32 v[14:15], null, v20, v9, 0
	v_mad_u64_u32 v[10:11], null, v5, v16, 0
	;; [unrolled: 1-line block ×3, first 2 shown]
	v_add_co_u32 v9, vcc_lo, v21, v10
	v_add_co_ci_u32_e64 v10, null, 0, v11, vcc_lo
	v_add_co_u32 v9, vcc_lo, v9, v14
	v_add_co_ci_u32_e32 v9, vcc_lo, v10, v15, vcc_lo
	v_add_co_ci_u32_e32 v10, vcc_lo, 0, v17, vcc_lo
	v_add_co_u32 v9, vcc_lo, v9, v16
	v_add_co_ci_u32_e64 v10, null, 0, v10, vcc_lo
	v_add_co_u32 v5, vcc_lo, v5, v9
	v_add_co_ci_u32_e64 v20, null, v20, v10, vcc_lo
	v_mul_lo_u32 v11, v19, v5
	v_mad_u64_u32 v[9:10], null, v18, v5, 0
	v_mul_lo_u32 v14, v18, v20
	v_mul_hi_u32 v18, v5, v9
	v_add3_u32 v16, v10, v14, v11
	v_mad_u64_u32 v[14:15], null, v20, v9, 0
	v_mad_u64_u32 v[10:11], null, v5, v16, 0
	v_mad_u64_u32 v[16:17], null, v20, v16, 0
	v_add_co_u32 v9, vcc_lo, v18, v10
	v_add_co_ci_u32_e64 v10, null, 0, v11, vcc_lo
	v_add_co_u32 v9, vcc_lo, v9, v14
	v_add_co_ci_u32_e32 v9, vcc_lo, v10, v15, vcc_lo
	v_add_co_ci_u32_e32 v10, vcc_lo, 0, v17, vcc_lo
	v_add_co_u32 v9, vcc_lo, v9, v16
	v_add_co_ci_u32_e64 v10, null, 0, v10, vcc_lo
	v_add_co_u32 v5, vcc_lo, v5, v9
	v_add_co_ci_u32_e64 v11, null, v20, v10, vcc_lo
	v_mul_hi_u32 v18, v30, v5
	v_mad_u64_u32 v[14:15], null, v86, v5, 0
	v_mad_u64_u32 v[9:10], null, v30, v11, 0
	;; [unrolled: 1-line block ×3, first 2 shown]
	v_add_co_u32 v5, vcc_lo, v18, v9
	v_add_co_ci_u32_e64 v9, null, 0, v10, vcc_lo
	v_add_co_u32 v5, vcc_lo, v5, v14
	v_add_co_ci_u32_e32 v5, vcc_lo, v9, v15, vcc_lo
	v_add_co_ci_u32_e32 v9, vcc_lo, 0, v17, vcc_lo
	v_add_co_u32 v5, vcc_lo, v5, v16
	v_add_co_ci_u32_e64 v11, null, 0, v9, vcc_lo
	v_mul_lo_u32 v14, v53, v5
	v_mad_u64_u32 v[9:10], null, v52, v5, 0
	v_mul_lo_u32 v15, v52, v11
	v_sub_co_u32 v9, vcc_lo, v30, v9
	v_add3_u32 v10, v10, v15, v14
	v_add_co_u32 v15, s4, v5, 2
	v_add_co_ci_u32_e64 v16, null, 0, v11, s4
	v_sub_nc_u32_e32 v14, v86, v10
	v_sub_co_u32 v17, s4, v9, v52
	v_sub_co_ci_u32_e64 v10, null, v86, v10, vcc_lo
	v_sub_co_ci_u32_e64 v14, null, v14, v53, vcc_lo
	v_cmp_ge_u32_e32 vcc_lo, v17, v52
	v_subrev_co_ci_u32_e64 v14, null, 0, v14, s4
	v_cndmask_b32_e64 v17, 0, -1, vcc_lo
	v_cmp_eq_u32_e64 s4, v10, v53
	v_cmp_ge_u32_e32 vcc_lo, v14, v53
	v_cndmask_b32_e64 v18, 0, -1, vcc_lo
	v_cmp_ge_u32_e32 vcc_lo, v9, v52
	v_cndmask_b32_e64 v9, 0, -1, vcc_lo
	;; [unrolled: 2-line block ×3, first 2 shown]
	v_cmp_eq_u32_e32 vcc_lo, v14, v53
	v_cndmask_b32_e64 v9, v19, v9, s4
	v_cndmask_b32_e32 v14, v18, v17, vcc_lo
	v_add_co_u32 v17, vcc_lo, v5, 1
	v_add_co_ci_u32_e64 v18, null, 0, v11, vcc_lo
	v_cmp_ne_u32_e32 vcc_lo, 0, v14
	v_cndmask_b32_e32 v10, v18, v16, vcc_lo
	v_cndmask_b32_e32 v14, v17, v15, vcc_lo
	v_cmp_ne_u32_e32 vcc_lo, 0, v9
	v_cndmask_b32_e32 v28, v11, v10, vcc_lo
	v_cndmask_b32_e32 v27, v5, v14, vcc_lo
.LBB2_10:
	s_or_saveexec_b32 s4, s5
	v_mad_u64_u32 v[4:5], null, v33, v4, 0
	s_xor_b32 exec_lo, exec_lo, s4
	s_cbranch_execz .LBB2_12
; %bb.11:
	v_cvt_f32_u32_e32 v4, v52
	v_sub_nc_u32_e32 v9, 0, v52
	v_mov_b32_e32 v28, 0
	v_rcp_iflag_f32_e32 v4, v4
	v_mul_f32_e32 v4, 0x4f7ffffe, v4
	v_cvt_u32_f32_e32 v4, v4
	v_mul_lo_u32 v9, v9, v4
	v_mul_hi_u32 v9, v4, v9
	v_add_nc_u32_e32 v4, v4, v9
	v_mul_hi_u32 v4, v30, v4
	v_mul_lo_u32 v9, v4, v52
	v_add_nc_u32_e32 v10, 1, v4
	v_sub_nc_u32_e32 v9, v30, v9
	v_sub_nc_u32_e32 v11, v9, v52
	v_cmp_ge_u32_e32 vcc_lo, v9, v52
	v_cndmask_b32_e32 v9, v9, v11, vcc_lo
	v_cndmask_b32_e32 v4, v4, v10, vcc_lo
	v_cmp_ge_u32_e32 vcc_lo, v9, v52
	v_add_nc_u32_e32 v10, 1, v4
	v_cndmask_b32_e32 v27, v4, v10, vcc_lo
.LBB2_12:
	s_or_b32 exec_lo, exec_lo, s4
	v_sub_nc_u32_e32 v4, v13, v12
                                        ; implicit-def: $vgpr48_vgpr49
	s_mov_b32 s4, exec_lo
	v_add_nc_u16 v4, v4, 1
	v_lshrrev_b16 v9, 15, v4
	v_add_nc_u16 v4, v4, v9
	v_mov_b32_e32 v9, 0
	v_ashrrev_i16 v4, 1, v4
	v_bfe_i32 v34, v4, 0, 16
	v_ashrrev_i32_e32 v4, 31, v34
	v_or_b32_e32 v10, v28, v4
	v_cmpx_ne_u64_e32 0, v[9:10]
	s_xor_b32 s5, exec_lo, s4
	s_cbranch_execz .LBB2_14
; %bb.13:
	v_ashrrev_i32_e32 v16, 31, v4
	v_add_co_u32 v9, vcc_lo, v34, v16
	v_add_co_ci_u32_e64 v4, null, v4, v16, vcc_lo
	v_xor_b32_e32 v17, v9, v16
	v_xor_b32_e32 v4, v4, v16
	v_cvt_f32_u32_e32 v9, v17
	v_sub_co_u32 v18, vcc_lo, 0, v17
	v_cvt_f32_u32_e32 v10, v4
	v_sub_co_ci_u32_e64 v19, null, 0, v4, vcc_lo
	v_fmamk_f32 v9, v10, 0x4f800000, v9
	v_rcp_f32_e32 v9, v9
	v_mul_f32_e32 v9, 0x5f7ffffc, v9
	v_mul_f32_e32 v10, 0x2f800000, v9
	v_trunc_f32_e32 v10, v10
	v_fmamk_f32 v9, v10, 0xcf800000, v9
	v_cvt_u32_f32_e32 v20, v10
	v_cvt_u32_f32_e32 v21, v9
	v_mul_lo_u32 v11, v18, v20
	v_mul_lo_u32 v12, v19, v21
	v_mad_u64_u32 v[9:10], null, v18, v21, 0
	v_add3_u32 v14, v10, v11, v12
	v_mul_hi_u32 v22, v21, v9
	v_mad_u64_u32 v[12:13], null, v20, v9, 0
	v_mad_u64_u32 v[10:11], null, v21, v14, 0
	;; [unrolled: 1-line block ×3, first 2 shown]
	v_add_co_u32 v9, vcc_lo, v22, v10
	v_add_co_ci_u32_e64 v10, null, 0, v11, vcc_lo
	v_add_co_u32 v9, vcc_lo, v9, v12
	v_add_co_ci_u32_e32 v9, vcc_lo, v10, v13, vcc_lo
	v_add_co_ci_u32_e32 v10, vcc_lo, 0, v15, vcc_lo
	v_add_co_u32 v9, vcc_lo, v9, v14
	v_add_co_ci_u32_e64 v10, null, 0, v10, vcc_lo
	v_add_co_u32 v21, vcc_lo, v21, v9
	v_add_co_ci_u32_e64 v20, null, v20, v10, vcc_lo
	v_mul_lo_u32 v11, v19, v21
	v_mad_u64_u32 v[9:10], null, v18, v21, 0
	v_mul_lo_u32 v12, v18, v20
	v_mul_hi_u32 v18, v21, v9
	v_add3_u32 v14, v10, v12, v11
	v_mad_u64_u32 v[12:13], null, v20, v9, 0
	v_mad_u64_u32 v[10:11], null, v21, v14, 0
	;; [unrolled: 1-line block ×3, first 2 shown]
	v_add_co_u32 v9, vcc_lo, v18, v10
	v_add_co_ci_u32_e64 v10, null, 0, v11, vcc_lo
	v_ashrrev_i32_e32 v18, 31, v28
	v_add_co_u32 v9, vcc_lo, v9, v12
	v_add_co_ci_u32_e32 v9, vcc_lo, v10, v13, vcc_lo
	v_add_co_ci_u32_e32 v10, vcc_lo, 0, v15, vcc_lo
	v_add_co_u32 v11, vcc_lo, v27, v18
	v_add_co_ci_u32_e64 v12, null, v28, v18, vcc_lo
	v_add_co_u32 v9, vcc_lo, v9, v14
	v_add_co_ci_u32_e64 v10, null, 0, v10, vcc_lo
	v_xor_b32_e32 v15, v11, v18
	v_add_co_u32 v11, vcc_lo, v21, v9
	v_add_co_ci_u32_e64 v13, null, v20, v10, vcc_lo
	v_xor_b32_e32 v19, v12, v18
	v_mul_hi_u32 v20, v15, v11
	v_mad_u64_u32 v[9:10], null, v15, v13, 0
	v_mad_u64_u32 v[11:12], null, v19, v11, 0
	v_mad_u64_u32 v[13:14], null, v19, v13, 0
	v_add_co_u32 v9, vcc_lo, v20, v9
	v_add_co_ci_u32_e64 v10, null, 0, v10, vcc_lo
	v_add_co_u32 v9, vcc_lo, v9, v11
	v_add_co_ci_u32_e32 v9, vcc_lo, v10, v12, vcc_lo
	v_add_co_ci_u32_e32 v10, vcc_lo, 0, v14, vcc_lo
	v_add_co_u32 v11, vcc_lo, v9, v13
	v_add_co_ci_u32_e64 v12, null, 0, v10, vcc_lo
	v_mul_lo_u32 v13, v4, v11
	v_mad_u64_u32 v[9:10], null, v17, v11, 0
	v_mul_lo_u32 v14, v17, v12
	v_sub_co_u32 v9, vcc_lo, v15, v9
	v_add3_u32 v10, v10, v14, v13
	v_add_co_u32 v14, s4, v11, 2
	v_add_co_ci_u32_e64 v15, null, 0, v12, s4
	v_sub_nc_u32_e32 v13, v19, v10
	v_sub_co_u32 v20, s4, v9, v17
	v_sub_co_ci_u32_e64 v10, null, v19, v10, vcc_lo
	v_sub_co_ci_u32_e64 v13, null, v13, v4, vcc_lo
	v_cmp_ge_u32_e32 vcc_lo, v20, v17
	v_subrev_co_ci_u32_e64 v13, null, 0, v13, s4
	v_cndmask_b32_e64 v19, 0, -1, vcc_lo
	v_cmp_ge_u32_e32 vcc_lo, v13, v4
	v_cndmask_b32_e64 v20, 0, -1, vcc_lo
	v_cmp_ge_u32_e32 vcc_lo, v9, v17
	;; [unrolled: 2-line block ×3, first 2 shown]
	v_cndmask_b32_e64 v17, 0, -1, vcc_lo
	v_cmp_eq_u32_e32 vcc_lo, v13, v4
	v_cndmask_b32_e32 v13, v20, v19, vcc_lo
	v_add_co_u32 v19, vcc_lo, v11, 1
	v_add_co_ci_u32_e64 v20, null, 0, v12, vcc_lo
	v_cmp_eq_u32_e32 vcc_lo, v10, v4
	v_xor_b32_e32 v10, v18, v16
	v_cndmask_b32_e32 v4, v17, v9, vcc_lo
	v_cmp_ne_u32_e32 vcc_lo, 0, v13
	v_cmp_ne_u32_e64 s4, 0, v4
	v_cndmask_b32_e32 v4, v19, v14, vcc_lo
	v_cndmask_b32_e32 v9, v20, v15, vcc_lo
	v_cndmask_b32_e64 v4, v11, v4, s4
	v_cndmask_b32_e64 v9, v12, v9, s4
	v_xor_b32_e32 v4, v4, v10
	v_xor_b32_e32 v9, v9, v10
	v_sub_co_u32 v48, vcc_lo, v4, v10
	v_sub_co_ci_u32_e64 v49, null, v9, v10, vcc_lo
.LBB2_14:
	s_andn2_saveexec_b32 s4, s5
	s_cbranch_execz .LBB2_16
; %bb.15:
	v_cvt_f32_u32_e32 v4, v34
	v_sub_nc_u32_e32 v9, 0, v34
	v_mov_b32_e32 v49, 0
	v_rcp_iflag_f32_e32 v4, v4
	v_mul_f32_e32 v4, 0x4f7ffffe, v4
	v_cvt_u32_f32_e32 v4, v4
	v_mul_lo_u32 v9, v9, v4
	v_mul_hi_u32 v9, v4, v9
	v_add_nc_u32_e32 v4, v4, v9
	v_mul_hi_u32 v4, v27, v4
	v_mul_lo_u32 v9, v4, v34
	v_add_nc_u32_e32 v10, 1, v4
	v_sub_nc_u32_e32 v9, v27, v9
	v_sub_nc_u32_e32 v11, v9, v34
	v_cmp_ge_u32_e32 vcc_lo, v9, v34
	v_cndmask_b32_e32 v9, v9, v11, vcc_lo
	v_cndmask_b32_e32 v4, v4, v10, vcc_lo
	v_cmp_ge_u32_e32 vcc_lo, v9, v34
	v_add_nc_u32_e32 v10, 1, v4
	v_cndmask_b32_e32 v48, v4, v10, vcc_lo
.LBB2_16:
	s_or_b32 exec_lo, exec_lo, s4
	s_trap 2
	ds_read_b64 v[9:10], v0
	v_mul_lo_u32 v4, v5, v8
	s_mov_b32 s7, exec_lo
	v_sub_nc_u32_e32 v11, v33, v4
	v_cmp_ge_u32_e64 s5, v11, v8
	s_waitcnt lgkmcnt(0)
	v_cmp_ne_u32_e32 vcc_lo, -1, v9
	v_sub_nc_u32_e32 v9, v11, v8
	v_cndmask_b32_e64 v54, 0, 1, vcc_lo
	v_cmp_ne_u32_e32 vcc_lo, -1, v10
	v_cndmask_b32_e64 v9, v11, v9, s5
	v_add_co_ci_u32_e64 v4, null, 0, v54, vcc_lo
	v_cmp_ge_u32_e64 s4, v9, v8
	v_lshlrev_b32_e32 v10, 1, v4
	v_cmpx_le_u32_e64 v10, v1
	s_xor_b32 s19, exec_lo, s7
	s_cbranch_execz .LBB2_649
; %bb.17:
	flat_load_dwordx4 v[8:11], v[2:3] offset:16
	s_trap 2
	s_load_dword s6, s[8:9], 0x0
	v_mov_b32_e32 v12, 0
	v_add_nc_u32_e32 v13, 1, v5
	v_ashrrev_i32_e32 v35, 31, v7
	ds_read_b32 v15, v0
	v_mov_b32_e32 v96, 4
	v_cndmask_b32_e64 v5, v5, v13, s5
	v_bfe_i32 v13, v32, 30, 1
	s_mov_b32 s5, exec_lo
	v_add_nc_u32_e32 v14, 1, v5
	v_xor_b32_e32 v13, v35, v13
	v_cndmask_b32_e64 v5, v5, v14, s4
	v_sub_nc_u32_e32 v14, 0, v32
	s_waitcnt lgkmcnt(0)
	s_cmp_lt_u32 s12, s6
	s_cselect_b32 s6, 12, 18
	v_xor_b32_e32 v5, v5, v13
	s_add_u32 s6, s8, s6
	s_addc_u32 s7, s9, 0
	v_readfirstlane_b32 s10, v15
	global_load_ushort v87, v12, s[6:7]
	v_cvt_f32_u32_e32 v12, v32
	v_sub_nc_u32_e32 v36, v5, v13
	v_rcp_iflag_f32_e32 v12, v12
	v_mul_lo_u32 v6, v36, v6
	v_sub_nc_u32_e32 v38, v7, v6
	v_mul_f32_e32 v12, 0x4f7ffffe, v12
	v_sub_nc_u32_e32 v6, 0, v38
	v_cvt_u32_f32_e32 v12, v12
	v_mul_lo_u32 v5, v14, v12
	v_mul_hi_u32 v5, v12, v5
	v_add_nc_u32_e32 v5, v12, v5
	v_cmpx_ge_i32_e64 v0, v54
	s_cbranch_execz .LBB2_27
; %bb.18:
	v_cmp_ge_u32_e64 s4, v0, v4
                                        ; implicit-def: $vgpr96
	s_and_saveexec_b32 s6, s4
	s_xor_b32 s4, exec_lo, s6
	s_cbranch_execz .LBB2_24
; %bb.19:
	v_cndmask_b32_e64 v7, 0, 1, vcc_lo
	s_mov_b32 s6, exec_lo
	v_sub_nc_u32_e32 v7, v1, v7
	v_cmpx_ge_u32_e64 v0, v7
	s_xor_b32 s6, exec_lo, s6
; %bb.20:
                                        ; implicit-def: $vgpr4
; %bb.21:
	s_or_saveexec_b32 s6, s6
	v_mov_b32_e32 v96, 16
	s_xor_b32 exec_lo, exec_lo, s6
; %bb.22:
	v_sub_nc_u32_e32 v4, v1, v4
	v_cmp_lt_i32_e32 vcc_lo, v0, v4
	v_cndmask_b32_e64 v96, 32, 0, vcc_lo
; %bb.23:
	s_or_b32 exec_lo, exec_lo, s6
.LBB2_24:
	s_andn2_saveexec_b32 s4, s4
; %bb.25:
	v_mov_b32_e32 v96, 8
; %bb.26:
	s_or_b32 exec_lo, exec_lo, s4
.LBB2_27:
	s_or_b32 exec_lo, exec_lo, s5
	v_and_b32_e32 v4, 36, v96
	v_max_i32_e32 v37, v38, v6
	v_mov_b32_e32 v6, -1
	v_cmp_ne_u32_e32 vcc_lo, 0, v4
	s_and_saveexec_b32 s4, vcc_lo
	s_cbranch_execz .LBB2_29
; %bb.28:
	s_trap 2
	ds_read_b32 v6, v0
.LBB2_29:
	s_or_b32 exec_lo, exec_lo, s4
	v_mad_u64_u32 v[25:26], null, v33, v5, 0
	v_mad_u64_u32 v[28:29], null, v37, v5, 0
	v_and_b32_e32 v4, 24, v96
	s_mov_b32 s5, exec_lo
	v_cmpx_ne_u32_e32 0, v4
	s_cbranch_execz .LBB2_31
; %bb.30:
	s_trap 2
	s_waitcnt lgkmcnt(0)
	ds_read_b32 v6, v0
.LBB2_31:
	s_or_b32 exec_lo, exec_lo, s5
	v_mov_b32_e32 v14, 0
	v_mov_b32_e32 v4, 0
	;; [unrolled: 1-line block ×4, first 2 shown]
	s_waitcnt lgkmcnt(0)
	v_ashrrev_i32_e32 v7, 31, v6
                                        ; implicit-def: $vgpr12_vgpr13
                                        ; implicit-def: $vgpr97
                                        ; implicit-def: $vgpr22_vgpr23
                                        ; implicit-def: $vgpr50_vgpr51
                                        ; implicit-def: $vgpr18_vgpr19
                                        ; implicit-def: $vgpr16_vgpr17
	s_and_saveexec_b32 s4, vcc_lo
	s_cbranch_execz .LBB2_41
; %bb.32:
	s_trap 2
	ds_read_b64 v[4:5], v0
	v_lshlrev_b64 v[12:13], 3, v[6:7]
	s_mov_b32 s5, exec_lo
	s_waitcnt lgkmcnt(0)
	v_add_co_u32 v4, vcc_lo, v4, v12
	v_add_co_ci_u32_e64 v5, null, v5, v13, vcc_lo
                                        ; implicit-def: $vgpr12_vgpr13
	flat_load_dwordx2 v[20:21], v[4:5]
	s_waitcnt vmcnt(0) lgkmcnt(0)
	flat_load_dword v4, v[20:21] offset:640
	s_waitcnt vmcnt(0) lgkmcnt(0)
	v_cmpx_eq_u32_e32 1, v4
	s_cbranch_execz .LBB2_34
; %bb.33:
	flat_load_dwordx2 v[12:13], v[20:21] offset:648
	v_or_b32_e32 v96, 0x2000, v96
	s_waitcnt vmcnt(0) lgkmcnt(0)
	flat_load_dwordx2 v[4:5], v[12:13]
	s_trap 2
	s_waitcnt vmcnt(0) lgkmcnt(0)
	ds_write_b64 v0, v[4:5]
	flat_load_dwordx2 v[4:5], v[12:13] offset:8
	s_waitcnt vmcnt(0) lgkmcnt(0)
	ds_write_b64 v0, v[4:5]
	flat_load_dwordx2 v[4:5], v[12:13] offset:16
	s_waitcnt vmcnt(0) lgkmcnt(0)
	ds_write_b64 v0, v[4:5]
.LBB2_34:
	s_or_b32 exec_lo, exec_lo, s5
	flat_load_dwordx2 v[4:5], v[20:21] offset:608
	v_and_b32_e32 v14, 32, v96
	s_mov_b32 s5, exec_lo
                                        ; implicit-def: $vgpr16_vgpr17
	s_waitcnt vmcnt(0) lgkmcnt(0)
	v_add_co_u32 v4, vcc_lo, v4, 3
	v_add_co_ci_u32_e64 v51, null, 0, v5, vcc_lo
	v_and_b32_e32 v50, -4, v4
	v_cmpx_ne_u32_e32 0, v14
	s_cbranch_execz .LBB2_36
; %bb.35:
	flat_load_dwordx2 v[16:17], v[20:21] offset:560
	s_waitcnt vmcnt(0) lgkmcnt(0)
	s_waitcnt_vscnt null, 0x0
	flat_store_dwordx2 v[16:17], v[50:51]
.LBB2_36:
	s_or_b32 exec_lo, exec_lo, s5
	v_and_b32_e32 v18, 4, v96
	v_add_co_u32 v14, vcc_lo, 0x1f8, v20
	v_mov_b32_e32 v4, 0
	v_add_co_ci_u32_e64 v15, null, 0, v21, vcc_lo
	v_mov_b32_e32 v5, 0
	v_cmp_ne_u32_e32 vcc_lo, 0, v18
                                        ; implicit-def: $vgpr97
                                        ; implicit-def: $vgpr22_vgpr23
                                        ; implicit-def: $vgpr18_vgpr19
	s_and_saveexec_b32 s5, vcc_lo
	s_cbranch_execz .LBB2_40
; %bb.37:
	v_and_b32_e32 v4, 0x800, v96
	s_mov_b32 s6, exec_lo
	v_cmpx_eq_u32_e32 0, v4
	s_cbranch_execz .LBB2_39
; %bb.38:
	s_trap 2
	ds_write_b64 v0, v[14:15]
.LBB2_39:
	s_or_b32 exec_lo, exec_lo, s6
	flat_load_dwordx2 v[16:17], v[20:21] offset:552
	s_waitcnt vmcnt(0) lgkmcnt(0)
	flat_load_dwordx2 v[22:23], v[16:17] glc dlc
	s_clause 0x2
	flat_load_dwordx2 v[4:5], v[20:21] offset:600
	flat_load_dword v97, v[20:21] offset:576
	flat_load_dwordx2 v[18:19], v[20:21] offset:520
	v_or_b32_e32 v20, 0x100, v96
	s_waitcnt vmcnt(2) lgkmcnt(2)
	v_cmp_eq_u64_e32 vcc_lo, 0, v[4:5]
	v_cndmask_b32_e32 v96, v20, v96, vcc_lo
.LBB2_40:
	s_or_b32 exec_lo, exec_lo, s5
.LBB2_41:
	s_or_b32 exec_lo, exec_lo, s4
	v_and_b32_e32 v20, 24, v96
	v_ashrrev_i32_e32 v38, 31, v38
	v_cmp_ne_u32_e32 vcc_lo, 0, v20
                                        ; implicit-def: $vgpr20_vgpr21
	s_and_saveexec_b32 s4, vcc_lo
	s_cbranch_execz .LBB2_49
; %bb.42:
	s_trap 2
	ds_read_b64 v[4:5], v0
	v_lshlrev_b64 v[6:7], 3, v[6:7]
	v_or_b32_e32 v20, 0x100, v96
	s_waitcnt lgkmcnt(0)
	v_add_co_u32 v4, vcc_lo, v4, v6
	v_add_co_ci_u32_e64 v5, null, v5, v7, vcc_lo
	flat_load_dwordx2 v[14:15], v[4:5]
	s_waitcnt vmcnt(0) lgkmcnt(0)
	flat_load_dwordx4 v[4:7], v[14:15] offset:96
	s_waitcnt vmcnt(0) lgkmcnt(0)
	v_cmp_eq_u64_e32 vcc_lo, 0, v[4:5]
	v_cndmask_b32_e32 v96, v20, v96, vcc_lo
	v_and_b32_e32 v20, 16, v96
	v_cmp_ne_u32_e32 vcc_lo, 0, v20
                                        ; implicit-def: $vgpr20_vgpr21
	s_and_saveexec_b32 s5, vcc_lo
	s_cbranch_execz .LBB2_44
; %bb.43:
	s_clause 0x2
	flat_load_dwordx2 v[16:17], v[14:15] offset:48
	flat_load_dwordx2 v[20:21], v[14:15] offset:120
	;; [unrolled: 1-line block ×3, first 2 shown]
.LBB2_44:
	s_or_b32 exec_lo, exec_lo, s5
	v_add_co_u32 v6, vcc_lo, v6, 3
	v_and_b32_e32 v25, 8, v96
	v_add_co_ci_u32_e64 v51, null, 0, v7, vcc_lo
	v_and_b32_e32 v50, -4, v6
	s_mov_b32 s5, exec_lo
	v_cmpx_ne_u32_e32 0, v25
	s_cbranch_execz .LBB2_48
; %bb.45:
	v_and_b32_e32 v6, 0x800, v96
	s_mov_b32 s6, exec_lo
	v_cmpx_eq_u32_e32 0, v6
	s_cbranch_execz .LBB2_47
; %bb.46:
	s_trap 2
	ds_write_b64 v0, v[14:15]
.LBB2_47:
	s_or_b32 exec_lo, exec_lo, s6
	s_waitcnt vmcnt(2) lgkmcnt(2)
	flat_load_dwordx2 v[16:17], v[14:15] offset:56
	s_waitcnt vmcnt(0) lgkmcnt(0)
	flat_load_dwordx2 v[22:23], v[16:17] glc dlc
	s_clause 0x1
	flat_load_dword v97, v[14:15] offset:72
	flat_load_dwordx2 v[18:19], v[14:15] offset:16
.LBB2_48:
	s_or_b32 exec_lo, exec_lo, s5
.LBB2_49:
	s_or_b32 exec_lo, exec_lo, s4
	v_cmp_eq_u32_e64 s4, 0, v0
	s_and_saveexec_b32 s5, s4
	s_cbranch_execz .LBB2_51
; %bb.50:
	s_waitcnt vmcnt(1)
	v_mov_b32_e32 v6, v10
	v_mov_b32_e32 v10, 0
	;; [unrolled: 1-line block ×4, first 2 shown]
	ds_write2_b64 v0, v[6:7], v[8:9] offset1:1
	s_trap 2
	ds_write_b64 v0, v[10:11]
.LBB2_51:
	s_or_b32 exec_lo, exec_lo, s5
	s_waitcnt vmcnt(1)
	v_mov_b32_e32 v10, 0
	v_mov_b32_e32 v11, 0
	v_cmp_ne_u32_e64 s5, 32, v1
	s_cmp_lt_i32 s18, -1
	s_mov_b32 s20, -1
	s_cbranch_scc1 .LBB2_615
; %bb.52:
	v_mul_lo_u32 v6, v26, v32
	v_ashrrev_i32_e32 v11, 31, v0
	s_abs_i32 s21, s18
	s_ashr_i32 s11, s10, 31
	v_cvt_f32_u32_e32 v55, s21
	v_mov_b32_e32 v26, 0
	v_lshrrev_b32_e32 v11, 27, v11
	v_lshrrev_b32_e32 v98, 5, v1
	v_sub_nc_u32_e32 v8, v33, v6
	v_mad_u64_u32 v[6:7], null, v48, v34, 0
	v_mul_lo_u32 v7, v29, v32
	v_add_nc_u32_e32 v11, v0, v11
	v_sub_nc_u32_e32 v9, v8, v32
	v_cmp_ge_u32_e32 vcc_lo, v8, v32
	s_lshr_b32 s6, s18, 31
	s_lshr_b32 s11, s11, 25
	v_sub_co_u32 v6, null, v27, v6
	v_cndmask_b32_e32 v8, v8, v9, vcc_lo
	v_add_nc_u32_e32 v9, 1, v29
	s_sub_i32 s16, 0, s21
	s_add_i32 s6, s18, s6
	s_add_i32 s10, s10, s11
	v_sub_nc_u32_e32 v10, v8, v32
	v_cmp_ge_u32_e32 vcc_lo, v8, v32
	v_cmp_ge_i32_e64 s14, v0, v1
	s_waitcnt lgkmcnt(1)
	v_cmp_eq_u64_e64 s12, 0, v[20:21]
	v_cmp_ne_u64_e64 s13, 0, v[20:21]
	v_and_b32_e32 v24, 0x3ffffe00, v24
	v_cndmask_b32_e32 v8, v8, v10, vcc_lo
	v_sub_nc_u32_e32 v10, v37, v7
	s_ashr_i32 s22, s6, 1
	v_mov_b32_e32 v25, v26
	v_lshlrev_b32_e32 v99, 10, v98
	v_xor_b32_e32 v7, v8, v35
	v_cmp_ge_u32_e32 vcc_lo, v10, v32
	v_lshlrev_b32_e32 v101, 9, v98
	v_lshlrev_b32_e32 v102, 8, v98
	v_and_b32_e32 v103, 0x1fe0, v1
	v_sub_nc_u32_e32 v7, v7, v35
	v_cndmask_b32_e32 v28, v29, v9, vcc_lo
	v_sub_nc_u32_e32 v29, v10, v32
	s_ashr_i32 s23, s10, 7
	v_ashrrev_i32_e32 v112, 31, v97
	v_mad_u64_u32 v[8:9], null, v36, v32, v[7:8]
	v_cndmask_b32_e32 v9, v10, v29, vcc_lo
	v_add_nc_u32_e32 v10, 1, v28
	v_ashrrev_i32_e32 v7, 31, v6
	v_cmp_eq_u32_e64 s10, 32, v1
	s_waitcnt vmcnt(0)
	v_cmp_ne_u32_sdwa s24, v1, v87 src0_sel:DWORD src1_sel:WORD_0
	v_cmp_ge_u32_e32 vcc_lo, v9, v32
	v_mov_b32_e32 v115, 1
	v_mov_b32_e32 v116, 0x88
	s_mov_b32 s17, 0
	s_xor_b32 s26, s14, -1
	v_cndmask_b32_e32 v9, v28, v10, vcc_lo
	v_cmp_lt_i32_e32 vcc_lo, v8, v6
	v_ashrrev_i32_e32 v28, 5, v11
	v_and_b32_e32 v11, 0xffffffe0, v11
	s_trap 2
	v_xor_b32_e32 v9, v9, v38
	v_cndmask_b32_e64 v10, 0, 1, vcc_lo
	v_sub_nc_u32_e32 v100, v0, v11
	v_sub_nc_u32_e32 v66, v9, v38
	v_add_co_u32 v27, vcc_lo, v48, v10
	v_add_co_ci_u32_e64 v29, null, 0, v49, vcc_lo
	v_min_i32_e32 v10, v8, v6
	v_mul_lo_u32 v35, v27, v53
	v_mad_u64_u32 v[32:33], null, v27, v52, 0
	v_mul_lo_u32 v34, v29, v52
	v_ashrrev_i32_e32 v9, 31, v8
	v_ashrrev_i32_e32 v11, 31, v10
	;; [unrolled: 1-line block ×3, first 2 shown]
	v_mul_lo_u32 v49, v49, v8
	v_ashrrev_i32_e32 v29, 31, v28
	v_mul_lo_u32 v67, v48, v9
	v_mad_u64_u32 v[10:11], null, v48, v8, v[10:11]
	v_add3_u32 v33, v33, v35, v34
	v_mul_lo_u32 v27, v32, v27
	v_mad_u64_u32 v[38:39], null, v32, v66, 0
	v_cmp_lt_i64_e64 s7, v[8:9], v[6:7]
	v_mul_lo_u32 v35, v33, v66
	v_add3_u32 v11, v49, v11, v67
	v_lshrrev_b32_e32 v65, 31, v33
	v_mul_lo_u32 v64, v10, v53
	v_mad_u64_u32 v[36:37], null, v10, v52, 0
	v_mul_lo_u32 v68, v11, v52
	v_add_co_u32 v10, vcc_lo, v32, v65
	v_add3_u32 v27, v39, v27, v35
	v_add_co_ci_u32_e64 v11, null, 0, v33, vcc_lo
	v_cndmask_b32_e64 v7, v7, v9, s7
	v_cndmask_b32_e64 v6, v6, v8, s7
	v_lshrrev_b32_e32 v39, 31, v27
	v_add3_u32 v37, v37, v64, v68
	v_ashrrev_i64 v[64:65], 1, v[10:11]
	v_lshlrev_b32_e32 v34, 4, v100
	v_mad_u64_u32 v[6:7], null, v48, v8, v[6:7]
	v_add_co_u32 v10, vcc_lo, v38, v39
	v_add_co_ci_u32_e64 v11, null, 0, v27, vcc_lo
	v_sub_co_u32 v27, vcc_lo, v32, v64
	v_add3_u32 v7, v49, v7, v67
	v_ashrrev_i64 v[38:39], 1, v[10:11]
	v_rcp_iflag_f32_e32 v10, v55
	v_mad_u64_u32 v[48:49], null, v6, v52, 0
	v_mul_lo_u32 v7, v7, v52
	v_lshl_add_u32 v34, v28, 10, v34
	v_sub_co_ci_u32_e64 v68, null, v33, v65, vcc_lo
	v_cmp_eq_u32_e32 vcc_lo, 0, v66
	v_and_b32_e32 v9, 31, v31
	v_cmp_gt_i32_e64 s6, 1, v100
	v_mul_f32_e32 v8, 0x4f7ffffe, v10
	v_mov_b32_e32 v10, 0
	v_ashrrev_i32_e32 v35, 31, v34
	v_cmp_eq_u32_e64 s7, 0, v9
	v_cmp_lt_i32_e64 s11, v100, v54
	v_cvt_u32_f32_e32 v8, v8
	v_mov_b32_e32 v11, 0
	v_cndmask_b32_e32 v113, v68, v65, vcc_lo
	v_cndmask_b32_e32 v114, v27, v64, vcc_lo
	v_readfirstlane_b32 s15, v8
	v_mul_lo_u32 v8, v6, v53
	s_mul_i32 s16, s16, s15
	s_mul_hi_u32 s16, s15, s16
	v_add3_u32 v49, v49, v8, v7
	s_add_i32 s25, s15, s16
	s_mov_b32 s16, s17
.LBB2_53:                               ; =>This Loop Header: Depth=1
                                        ;     Child Loop BB2_62 Depth 2
                                        ;     Child Loop BB2_69 Depth 2
	;; [unrolled: 1-line block ×5, first 2 shown]
                                        ;       Child Loop BB2_93 Depth 3
                                        ;         Child Loop BB2_101 Depth 4
                                        ;         Child Loop BB2_125 Depth 4
	;; [unrolled: 1-line block ×8, first 2 shown]
                                        ;       Child Loop BB2_214 Depth 3
                                        ;         Child Loop BB2_220 Depth 4
                                        ;         Child Loop BB2_244 Depth 4
                                        ;       Child Loop BB2_265 Depth 3
                                        ;         Child Loop BB2_268 Depth 4
                                        ;           Child Loop BB2_276 Depth 5
                                        ;           Child Loop BB2_304 Depth 5
	;; [unrolled: 1-line block ×8, first 2 shown]
                                        ;         Child Loop BB2_393 Depth 4
                                        ;           Child Loop BB2_399 Depth 5
                                        ;           Child Loop BB2_427 Depth 5
                                        ;       Child Loop BB2_447 Depth 3
                                        ;         Child Loop BB2_455 Depth 4
                                        ;         Child Loop BB2_479 Depth 4
	;; [unrolled: 1-line block ×8, first 2 shown]
                                        ;       Child Loop BB2_566 Depth 3
                                        ;         Child Loop BB2_572 Depth 4
                                        ;         Child Loop BB2_596 Depth 4
	s_sub_i32 s14, s18, s16
	s_trap 2
	s_abs_i32 s15, s14
	ds_read_b64 v[6:7], v0
	s_mul_hi_u32 s27, s15, s25
	s_ashr_i32 s14, s14, 31
	s_mul_i32 s27, s27, s21
	s_sub_i32 s15, s15, s27
	s_sub_i32 s27, s15, s21
	s_cmp_ge_u32 s15, s21
	s_cselect_b32 s15, s27, s15
	s_sub_i32 s27, s15, s21
	s_cmp_ge_u32 s15, s21
	s_cselect_b32 s15, s27, s15
	s_lshl_b64 s[28:29], s[16:17], 2
	s_xor_b32 s15, s15, s14
	s_sub_i32 s14, s15, s14
	s_waitcnt lgkmcnt(0)
	v_add_co_u32 v8, vcc_lo, v6, s28
	s_ashr_i32 s15, s14, 31
	v_add_co_ci_u32_e64 v9, null, s29, v7, vcc_lo
	s_lshl_b64 s[14:15], s[14:15], 2
	s_cmp_lg_u32 s16, 0
	v_add_co_u32 v6, vcc_lo, v6, s14
	v_add_co_ci_u32_e64 v7, null, s15, v7, vcc_lo
	s_clause 0x1
	flat_load_dword v8, v[8:9]
	flat_load_dword v6, v[6:7]
	s_cselect_b32 s14, -1, 0
	s_waitcnt vmcnt(1) lgkmcnt(1)
	v_ashrrev_i32_e32 v7, 31, v8
	v_mul_lo_u32 v9, v86, v8
	v_mad_u64_u32 v[64:65], null, v30, v8, 0
	s_waitcnt vmcnt(0) lgkmcnt(0)
	v_cmp_eq_u32_e32 vcc_lo, v6, v8
	v_ashrrev_i32_e32 v8, 31, v6
	v_mul_lo_u32 v66, v86, v6
	v_mad_u64_u32 v[54:55], null, v30, v6, 0
	v_mul_lo_u32 v6, v30, v7
	v_mul_lo_u32 v7, v30, v8
	v_cndmask_b32_e32 v27, 0, v39, vcc_lo
	v_cndmask_b32_e32 v41, 0, v38, vcc_lo
	;; [unrolled: 1-line block ×4, first 2 shown]
	v_add3_u32 v65, v65, v6, v9
	v_add3_u32 v55, v55, v7, v66
	v_add_co_u32 v6, vcc_lo, v64, v36
	v_add_co_ci_u32_e64 v7, null, v65, v37, vcc_lo
	v_add_co_u32 v8, vcc_lo, v54, v36
	v_add_co_ci_u32_e64 v9, null, v55, v37, vcc_lo
	;; [unrolled: 2-line block ×4, first 2 shown]
	s_and_b32 vcc_lo, exec_lo, s14
	s_cbranch_vccz .LBB2_55
; %bb.54:                               ;   in Loop: Header=BB2_53 Depth=1
	s_and_saveexec_b32 s27, s14
	s_cbranch_execnz .LBB2_85
	s_branch .LBB2_613
.LBB2_55:                               ;   in Loop: Header=BB2_53 Depth=1
	flat_load_dwordx4 v[6:9], v[2:3] offset:16
	s_mov_b32 s14, -1
	s_mov_b32 s15, exec_lo
	s_waitcnt vmcnt(0) lgkmcnt(0)
	v_cmpx_ne_u64_e64 v[8:9], v[6:7]
	s_cbranch_execz .LBB2_84
; %bb.56:                               ;   in Loop: Header=BB2_53 Depth=1
	s_mov_b32 s27, 0
	s_and_saveexec_b32 s14, s6
; %bb.57:                               ;   in Loop: Header=BB2_53 Depth=1
	v_add_nc_u32_e32 v66, v8, v117
	v_add_nc_u32_e32 v67, v6, v119
	v_or_b32_e32 v66, v66, v67
	v_and_b32_e32 v66, 15, v66
	v_cmp_ne_u32_e32 vcc_lo, 0, v66
	s_and_b32 s27, vcc_lo, exec_lo
; %bb.58:                               ;   in Loop: Header=BB2_53 Depth=1
	s_or_b32 exec_lo, exec_lo, s14
	v_cndmask_b32_e64 v66, 0, 1, s27
	v_cmp_ne_u32_e32 vcc_lo, 0, v66
	s_cbranch_vccz .LBB2_60
; %bb.59:                               ;   in Loop: Header=BB2_53 Depth=1
	v_mov_b32_e32 v66, 0
	v_mov_b32_e32 v69, v53
	;; [unrolled: 1-line block ×8, first 2 shown]
	s_mov_b32 s14, -1
	s_and_saveexec_b32 s27, s14
	s_cbranch_execnz .LBB2_75
	s_branch .LBB2_83
.LBB2_60:                               ;   in Loop: Header=BB2_53 Depth=1
	v_ashrrev_i32_e32 v66, 31, v53
	s_mov_b32 s27, exec_lo
	v_lshrrev_b32_e32 v66, 22, v66
	v_add_co_u32 v66, vcc_lo, v52, v66
	v_add_co_ci_u32_e64 v67, null, 0, v53, vcc_lo
	v_ashrrev_i64 v[66:67], 10, v[66:67]
	v_sub_co_u32 v70, vcc_lo, v66, v28
	v_sub_co_ci_u32_e64 v71, null, v67, v29, vcc_lo
	v_cmpx_lt_i64_e32 0, v[70:71]
	s_cbranch_execz .LBB2_64
; %bb.61:                               ;   in Loop: Header=BB2_53 Depth=1
	v_add_co_u32 v68, vcc_lo, v48, v41
	v_add_co_ci_u32_e64 v69, null, v49, v27, vcc_lo
	s_mov_b32 s28, 0
	v_add_co_u32 v80, vcc_lo, v68, v8
	v_add_co_ci_u32_e64 v81, null, v69, v9, vcc_lo
	v_add_co_u32 v82, vcc_lo, v68, v6
	v_add_co_ci_u32_e64 v83, null, v69, v7, vcc_lo
	v_add_co_u32 v68, vcc_lo, v80, v64
	v_add_co_ci_u32_e64 v69, null, v81, v65, vcc_lo
	v_add_co_u32 v80, vcc_lo, v82, v54
	v_add_co_ci_u32_e64 v81, null, v83, v55, vcc_lo
	.p2align	6
.LBB2_62:                               ;   Parent Loop BB2_53 Depth=1
                                        ; =>  This Inner Loop Header: Depth=2
	v_add_co_u32 v42, vcc_lo, v34, v68
	v_add_co_ci_u32_e64 v43, null, v35, v69, vcc_lo
	v_add_co_u32 v46, vcc_lo, v34, v80
	v_add_co_ci_u32_e64 v47, null, v35, v81, vcc_lo
	s_clause 0x1
	global_load_dwordx4 v[82:85], v[42:43], off slc
	global_load_dwordx4 v[42:45], v[42:43], off offset:512 slc
	v_sub_co_u32 v70, vcc_lo, v70, v98
	v_subrev_co_ci_u32_e64 v71, null, 0, v71, vcc_lo
	v_add_co_u32 v68, vcc_lo, v68, v99
	v_add_co_ci_u32_e64 v69, null, 0, v69, vcc_lo
	v_cmp_gt_i64_e32 vcc_lo, 1, v[70:71]
	v_add_co_u32 v80, s14, v80, v99
	v_add_co_ci_u32_e64 v81, null, 0, v81, s14
	s_waitcnt vmcnt(1)
	global_store_dwordx4 v[46:47], v[82:85], off glc slc
	s_waitcnt vmcnt(0)
	global_store_dwordx4 v[46:47], v[42:45], off offset:512 glc slc
	s_or_b32 s28, vcc_lo, s28
	s_andn2_b32 exec_lo, exec_lo, s28
	s_cbranch_execnz .LBB2_62
; %bb.63:                               ;   in Loop: Header=BB2_53 Depth=1
	s_or_b32 exec_lo, exec_lo, s28
.LBB2_64:                               ;   in Loop: Header=BB2_53 Depth=1
	s_or_b32 exec_lo, exec_lo, s27
	v_lshlrev_b64 v[80:81], 10, v[66:67]
	v_mov_b32_e32 v66, 0
	v_mov_b32_e32 v67, 0
	s_mov_b32 s14, 0
	s_mov_b32 s27, exec_lo
                                        ; implicit-def: $vgpr68_vgpr69
                                        ; implicit-def: $vgpr85
                                        ; implicit-def: $vgpr82
                                        ; implicit-def: $vgpr83_vgpr84
	v_cmpx_ne_u64_e64 v[52:53], v[80:81]
	s_cbranch_execz .LBB2_74
; %bb.65:                               ;   in Loop: Header=BB2_53 Depth=1
	v_sub_co_u32 v71, vcc_lo, v52, v80
	v_sub_co_ci_u32_e64 v83, null, v53, v81, vcc_lo
	v_ashrrev_i32_e32 v66, 31, v83
	v_lshrrev_b32_e32 v66, 23, v66
	v_add_co_u32 v66, vcc_lo, v71, v66
	v_add_co_ci_u32_e64 v67, null, 0, v83, vcc_lo
	v_and_b32_e32 v82, 0xfffffe00, v66
	v_ashrrev_i64 v[84:85], 9, v[66:67]
	v_sub_co_u32 v68, vcc_lo, v71, v82
	v_add_co_u32 v66, s14, v82, v80
	v_sub_co_ci_u32_e64 v69, null, v83, v67, vcc_lo
	v_add_co_ci_u32_e64 v67, null, v67, v81, s14
	s_mov_b32 s14, exec_lo
	v_cmpx_lt_i64_e32 15, v[68:69]
	s_cbranch_execz .LBB2_67
; %bb.66:                               ;   in Loop: Header=BB2_53 Depth=1
	v_and_b32_e32 v42, 15, v52
	v_add_co_u32 v84, vcc_lo, v84, 1
	v_add_co_ci_u32_e64 v85, null, 0, v85, vcc_lo
	v_sub_co_u32 v68, vcc_lo, v68, v42
	v_subrev_co_ci_u32_e64 v69, null, 0, v69, vcc_lo
	v_mov_b32_e32 v43, v26
	v_add_co_u32 v66, vcc_lo, v68, v66
	v_add_co_ci_u32_e64 v67, null, v69, v67, vcc_lo
	v_mov_b32_e32 v69, v43
	v_mov_b32_e32 v68, v42
.LBB2_67:                               ;   in Loop: Header=BB2_53 Depth=1
	s_or_b32 exec_lo, exec_lo, s14
	v_lshlrev_b32_e32 v70, 5, v70
	s_mov_b32 s28, exec_lo
	v_sub_nc_u32_e32 v70, v100, v70
	v_ashrrev_i32_e32 v82, 31, v70
	v_lshrrev_b32_e32 v82, 27, v82
	v_add_nc_u32_e32 v82, v70, v82
	v_and_b32_e32 v42, 0xffffffe0, v82
	v_sub_nc_u32_e32 v42, v70, v42
	v_ashrrev_i32_e32 v70, 5, v82
	v_lshlrev_b32_e32 v82, 4, v42
	v_lshl_add_u32 v43, v70, 9, v82
	v_ashrrev_i32_e32 v44, 31, v43
	v_sub_co_u32 v82, vcc_lo, v71, v43
	v_ashrrev_i32_e32 v71, 31, v70
	v_sub_co_u32 v70, s14, v84, v70
	v_sub_co_ci_u32_e64 v83, null, v83, v44, vcc_lo
	v_sub_co_ci_u32_e64 v71, null, v85, v71, s14
	v_cmpx_lt_i64_e32 15, v[82:83]
	s_cbranch_execz .LBB2_71
; %bb.68:                               ;   in Loop: Header=BB2_53 Depth=1
	v_add_co_u32 v84, vcc_lo, v36, v41
	v_add_co_ci_u32_e64 v85, null, v37, v27, vcc_lo
	s_mov_b32 s29, 0
	v_add_co_u32 v84, vcc_lo, v84, v80
	v_add_co_ci_u32_e64 v85, null, v85, v81, vcc_lo
	v_add_co_u32 v80, vcc_lo, v8, v64
	v_add_co_ci_u32_e64 v81, null, v9, v65, vcc_lo
	v_add_co_u32 v84, vcc_lo, v84, v43
	v_add_co_ci_u32_e64 v85, null, v85, v44, vcc_lo
	v_add_co_u32 v43, vcc_lo, v6, v54
	v_add_co_ci_u32_e64 v44, null, v7, v55, vcc_lo
	.p2align	6
.LBB2_69:                               ;   Parent Loop BB2_53 Depth=1
                                        ; =>  This Inner Loop Header: Depth=2
	v_add_co_u32 v45, vcc_lo, v80, v84
	v_add_co_ci_u32_e64 v46, null, v81, v85, vcc_lo
	global_load_dwordx4 v[56:59], v[45:46], off slc
	v_add_co_u32 v45, vcc_lo, v43, v84
	v_add_co_ci_u32_e64 v46, null, v44, v85, vcc_lo
	v_sub_co_u32 v82, vcc_lo, v82, v101
	v_subrev_co_ci_u32_e64 v83, null, 0, v83, vcc_lo
	v_sub_co_u32 v70, vcc_lo, v70, v98
	v_subrev_co_ci_u32_e64 v71, null, 0, v71, vcc_lo
	v_cmp_gt_i64_e32 vcc_lo, 16, v[82:83]
	v_add_co_u32 v84, s14, v84, v101
	v_add_co_ci_u32_e64 v85, null, 0, v85, s14
	s_or_b32 s29, vcc_lo, s29
	s_waitcnt vmcnt(0)
	global_store_dwordx4 v[45:46], v[56:59], off glc slc
	s_andn2_b32 exec_lo, exec_lo, s29
	s_cbranch_execnz .LBB2_69
; %bb.70:                               ;   in Loop: Header=BB2_53 Depth=1
	s_or_b32 exec_lo, exec_lo, s29
.LBB2_71:                               ;   in Loop: Header=BB2_53 Depth=1
	s_or_b32 exec_lo, exec_lo, s28
	s_mov_b32 s14, 0
	s_mov_b32 s28, exec_lo
                                        ; implicit-def: $vgpr85
                                        ; implicit-def: $vgpr82
                                        ; implicit-def: $vgpr83_vgpr84
	v_cmpx_ne_u64_e32 0, v[68:69]
	s_cbranch_execz .LBB2_73
; %bb.72:                               ;   in Loop: Header=BB2_53 Depth=1
	v_cmp_lt_i64_e32 vcc_lo, 0, v[70:71]
	s_mov_b32 s14, exec_lo
	v_cndmask_b32_e32 v71, 0, v98, vcc_lo
	v_sub_nc_u32_e32 v70, v71, v70
	v_lshl_add_u32 v85, v70, 5, v42
	v_ashrrev_i32_e32 v70, 31, v85
	v_lshrrev_b32_e32 v70, 27, v70
	v_add_nc_u32_e32 v70, v85, v70
	v_ashrrev_i32_e32 v82, 5, v70
	v_ashrrev_i32_e32 v83, 31, v82
	v_mov_b32_e32 v84, v83
	v_mov_b32_e32 v83, v82
.LBB2_73:                               ;   in Loop: Header=BB2_53 Depth=1
	s_or_b32 exec_lo, exec_lo, s28
	s_and_b32 s14, s14, exec_lo
.LBB2_74:                               ;   in Loop: Header=BB2_53 Depth=1
	s_or_b32 exec_lo, exec_lo, s27
	s_and_saveexec_b32 s27, s14
	s_cbranch_execz .LBB2_83
.LBB2_75:                               ;   in Loop: Header=BB2_53 Depth=1
	v_ashrrev_i32_e32 v70, 31, v69
	s_mov_b32 s14, exec_lo
	v_lshrrev_b32_e32 v70, 24, v70
	v_add_co_u32 v70, vcc_lo, v68, v70
	v_add_co_ci_u32_e64 v71, null, 0, v69, vcc_lo
	v_ashrrev_i64 v[80:81], 8, v[70:71]
	v_sub_co_u32 v70, vcc_lo, v80, v83
	v_ashrrev_i32_e32 v83, 31, v85
	v_sub_co_ci_u32_e64 v71, null, v81, v84, vcc_lo
	v_lshrrev_b32_e32 v83, 27, v83
	v_cmpx_lt_i64_e32 0, v[70:71]
	s_cbranch_execz .LBB2_79
; %bb.76:                               ;   in Loop: Header=BB2_53 Depth=1
	v_add_nc_u32_e32 v84, v85, v83
	v_add_co_u32 v42, vcc_lo, v36, v41
	v_add_co_ci_u32_e64 v43, null, v37, v27, vcc_lo
	v_and_b32_e32 v84, 0xffffffe0, v84
	v_add_co_u32 v42, vcc_lo, v42, v66
	v_add_co_ci_u32_e64 v43, null, v43, v67, vcc_lo
	v_sub_nc_u32_e32 v84, v85, v84
	v_add_co_u32 v44, vcc_lo, v42, v8
	v_add_co_ci_u32_e64 v45, null, v43, v9, vcc_lo
	v_add_co_u32 v46, vcc_lo, v42, v6
	v_lshl_add_u32 v82, v82, 8, v84
	v_add_co_ci_u32_e64 v47, null, v43, v7, vcc_lo
	v_add_co_u32 v42, vcc_lo, v44, v64
	v_add_co_ci_u32_e64 v43, null, v45, v65, vcc_lo
	v_add_co_u32 v44, vcc_lo, v46, v54
	v_ashrrev_i32_e32 v84, 31, v82
	v_add_co_ci_u32_e64 v45, null, v47, v55, vcc_lo
	s_mov_b32 s28, 0
.LBB2_77:                               ;   Parent Loop BB2_53 Depth=1
                                        ; =>  This Inner Loop Header: Depth=2
	v_add_co_u32 v46, vcc_lo, v82, v42
	v_add_co_ci_u32_e64 v47, null, v84, v43, vcc_lo
	s_clause 0x7
	flat_load_ubyte v56, v[46:47] slc
	flat_load_ubyte v57, v[46:47] offset:32 slc
	flat_load_ubyte v58, v[46:47] offset:64 slc
	;; [unrolled: 1-line block ×7, first 2 shown]
	v_add_co_u32 v46, vcc_lo, v82, v44
	v_add_co_ci_u32_e64 v47, null, v84, v45, vcc_lo
	v_sub_co_u32 v70, vcc_lo, v70, v98
	v_subrev_co_ci_u32_e64 v71, null, 0, v71, vcc_lo
	v_add_co_u32 v42, vcc_lo, v42, v102
	v_add_co_ci_u32_e64 v43, null, 0, v43, vcc_lo
	v_add_co_u32 v44, vcc_lo, v44, v102
	v_add_co_ci_u32_e64 v45, null, 0, v45, vcc_lo
	v_cmp_gt_i64_e32 vcc_lo, 1, v[70:71]
	s_waitcnt vmcnt(7) lgkmcnt(7)
	flat_store_byte v[46:47], v56 glc slc
	s_waitcnt vmcnt(6) lgkmcnt(7)
	flat_store_byte v[46:47], v57 offset:32 glc slc
	s_waitcnt vmcnt(5) lgkmcnt(7)
	flat_store_byte v[46:47], v58 offset:64 glc slc
	;; [unrolled: 2-line block ×7, first 2 shown]
	s_or_b32 s28, vcc_lo, s28
	s_andn2_b32 exec_lo, exec_lo, s28
	s_cbranch_execnz .LBB2_77
; %bb.78:                               ;   in Loop: Header=BB2_53 Depth=1
	s_or_b32 exec_lo, exec_lo, s28
.LBB2_79:                               ;   in Loop: Header=BB2_53 Depth=1
	s_or_b32 exec_lo, exec_lo, s14
	v_lshlrev_b64 v[80:81], 8, v[80:81]
	v_cmp_ne_u64_e32 vcc_lo, v[68:69], v[80:81]
	s_and_b32 exec_lo, exec_lo, vcc_lo
	s_cbranch_execz .LBB2_83
; %bb.80:                               ;   in Loop: Header=BB2_53 Depth=1
	v_add_nc_u32_e32 v71, v85, v83
	v_lshlrev_b32_e32 v70, 5, v70
	v_and_b32_e32 v71, 0xffffffe0, v71
	v_sub_nc_u32_e32 v71, v85, v71
	v_sub_nc_u32_e32 v70, v71, v70
	v_ashrrev_i32_e32 v71, 31, v70
	v_add_co_u32 v82, vcc_lo, v80, v70
	v_add_co_ci_u32_e64 v83, null, v81, v71, vcc_lo
	v_sub_co_u32 v68, vcc_lo, v68, v82
	v_sub_co_ci_u32_e64 v69, null, v69, v83, vcc_lo
	v_cmp_lt_i64_e32 vcc_lo, 0, v[68:69]
	s_and_b32 exec_lo, exec_lo, vcc_lo
	s_cbranch_execz .LBB2_83
; %bb.81:                               ;   in Loop: Header=BB2_53 Depth=1
	v_add_co_u32 v82, vcc_lo, v36, v41
	v_add_co_ci_u32_e64 v27, null, v37, v27, vcc_lo
	s_mov_b32 s28, 0
	v_add_co_u32 v66, vcc_lo, v82, v66
	v_add_co_ci_u32_e64 v27, null, v27, v67, vcc_lo
	v_add_co_u32 v66, vcc_lo, v66, v80
	v_add_co_ci_u32_e64 v67, null, v27, v81, vcc_lo
	;; [unrolled: 2-line block ×5, first 2 shown]
	.p2align	6
.LBB2_82:                               ;   Parent Loop BB2_53 Depth=1
                                        ; =>  This Inner Loop Header: Depth=2
	v_add_co_u32 v54, vcc_lo, v8, v27
	v_add_co_ci_u32_e64 v55, null, v9, v64, vcc_lo
	v_sub_co_u32 v68, vcc_lo, v68, v103
	v_subrev_co_ci_u32_e64 v69, null, 0, v69, vcc_lo
	flat_load_ubyte v65, v[54:55] slc
	v_add_co_u32 v54, vcc_lo, v6, v27
	v_add_co_ci_u32_e64 v55, null, v7, v64, vcc_lo
	v_cmp_gt_i64_e32 vcc_lo, 1, v[68:69]
	v_add_co_u32 v27, s14, v27, v103
	v_add_co_ci_u32_e64 v64, null, 0, v64, s14
	s_or_b32 s28, vcc_lo, s28
	s_waitcnt vmcnt(0) lgkmcnt(0)
	flat_store_byte v[54:55], v65 glc slc
	s_andn2_b32 exec_lo, exec_lo, s28
	s_cbranch_execnz .LBB2_82
.LBB2_83:                               ;   in Loop: Header=BB2_53 Depth=1
	s_or_b32 exec_lo, exec_lo, s27
	s_xor_b32 s14, exec_lo, -1
.LBB2_84:                               ;   in Loop: Header=BB2_53 Depth=1
	s_or_b32 exec_lo, exec_lo, s15
	s_and_saveexec_b32 s27, s14
	s_cbranch_execz .LBB2_613
.LBB2_85:                               ;   in Loop: Header=BB2_53 Depth=1
	s_mov_b32 s28, exec_lo
	v_cmpx_lt_i64_e32 0, v[52:53]
	s_cbranch_execz .LBB2_612
; %bb.86:                               ;   in Loop: Header=BB2_53 Depth=1
	v_mov_b32_e32 v6, 0
	v_mov_b32_e32 v7, 0
	s_cmp_gt_u32 s16, 1
	s_mov_b32 s29, 0
	s_cselect_b32 s40, -1, 0
	s_branch .LBB2_89
.LBB2_87:                               ;   in Loop: Header=BB2_89 Depth=2
	s_or_b32 exec_lo, exec_lo, s41
.LBB2_88:                               ;   in Loop: Header=BB2_89 Depth=2
	s_or_b32 exec_lo, exec_lo, s15
	v_add_co_u32 v6, vcc_lo, v6, v24
	v_add_co_ci_u32_e64 v7, null, 0, v7, vcc_lo
	v_cmp_ge_i64_e32 vcc_lo, v[6:7], v[52:53]
	s_or_b32 s29, vcc_lo, s29
	s_andn2_b32 exec_lo, exec_lo, s29
	s_cbranch_execz .LBB2_611
.LBB2_89:                               ;   Parent Loop BB2_53 Depth=1
                                        ; =>  This Loop Header: Depth=2
                                        ;       Child Loop BB2_93 Depth 3
                                        ;         Child Loop BB2_101 Depth 4
                                        ;         Child Loop BB2_125 Depth 4
	;; [unrolled: 1-line block ×8, first 2 shown]
                                        ;       Child Loop BB2_214 Depth 3
                                        ;         Child Loop BB2_220 Depth 4
                                        ;         Child Loop BB2_244 Depth 4
                                        ;       Child Loop BB2_265 Depth 3
                                        ;         Child Loop BB2_268 Depth 4
                                        ;           Child Loop BB2_276 Depth 5
                                        ;           Child Loop BB2_304 Depth 5
	;; [unrolled: 1-line block ×8, first 2 shown]
                                        ;         Child Loop BB2_393 Depth 4
                                        ;           Child Loop BB2_399 Depth 5
                                        ;           Child Loop BB2_427 Depth 5
                                        ;       Child Loop BB2_447 Depth 3
                                        ;         Child Loop BB2_455 Depth 4
                                        ;         Child Loop BB2_479 Depth 4
	;; [unrolled: 1-line block ×8, first 2 shown]
                                        ;       Child Loop BB2_566 Depth 3
                                        ;         Child Loop BB2_572 Depth 4
                                        ;         Child Loop BB2_596 Depth 4
	v_sub_co_u32 v8, vcc_lo, v52, v6
	v_sub_co_ci_u32_e64 v9, null, v53, v7, vcc_lo
	v_cmp_lt_i64_e32 vcc_lo, v[24:25], v[8:9]
	v_cndmask_b32_e32 v8, v8, v24, vcc_lo
	v_cndmask_b32_e64 v9, v9, 0, vcc_lo
	v_add_nc_u32_e32 v27, 31, v8
	v_cmp_ne_u64_e32 vcc_lo, 0, v[8:9]
	v_mov_b32_e32 v9, 0
	v_lshrrev_b32_e32 v27, 1, v27
	s_and_b32 s41, s26, vcc_lo
	v_and_b32_e32 v54, 0x3ffffff0, v27
	v_mov_b32_e32 v27, 0
	v_max_i32_e32 v54, s23, v54
	s_and_saveexec_b32 s42, s41
	s_cbranch_execz .LBB2_210
; %bb.90:                               ;   in Loop: Header=BB2_89 Depth=2
	v_mov_b32_e32 v9, 0
	s_mov_b32 s45, 1
	s_mov_b32 s44, -1
	s_mov_b32 s43, 0
	s_branch .LBB2_93
.LBB2_91:                               ;   in Loop: Header=BB2_93 Depth=3
	s_or_b32 exec_lo, exec_lo, s15
	v_add_co_u32 v50, vcc_lo, v50, 2
	v_add_co_ci_u32_e64 v51, null, 0, v51, vcc_lo
	s_waitcnt vmcnt(0) lgkmcnt(0)
	s_waitcnt_vscnt null, 0x0
	flat_store_dwordx2 v[16:17], v[50:51]
.LBB2_92:                               ;   in Loop: Header=BB2_93 Depth=3
	s_or_b32 exec_lo, exec_lo, s14
	v_add_nc_u32_e32 v9, v54, v9
	s_xor_b32 s14, s44, -1
	v_mov_b32_e32 v27, s45
	s_mov_b32 s44, 0
	s_mov_b32 s45, 2
	v_cmp_ge_i32_e32 vcc_lo, v9, v8
	s_or_b32 s14, s14, vcc_lo
	s_and_b32 s14, exec_lo, s14
	s_or_b32 s43, s14, s43
	s_andn2_b32 exec_lo, exec_lo, s43
	s_cbranch_execz .LBB2_209
.LBB2_93:                               ;   Parent Loop BB2_53 Depth=1
                                        ;     Parent Loop BB2_89 Depth=2
                                        ; =>    This Loop Header: Depth=3
                                        ;         Child Loop BB2_101 Depth 4
                                        ;         Child Loop BB2_125 Depth 4
	;; [unrolled: 1-line block ×8, first 2 shown]
	s_and_saveexec_b32 s14, s4
	s_cbranch_execz .LBB2_95
; %bb.94:                               ;   in Loop: Header=BB2_93 Depth=3
	s_trap 2
	ds_read_b64 v[64:65], v0
	s_waitcnt lgkmcnt(0)
	v_add_co_u32 v27, vcc_lo, v64, v117
	v_add_co_ci_u32_e64 v55, null, v65, v118, vcc_lo
	v_ashrrev_i32_e32 v65, 31, v9
	v_add_co_u32 v27, vcc_lo, v27, v6
	v_add_co_ci_u32_e64 v55, null, v55, v7, vcc_lo
	v_add_co_u32 v64, vcc_lo, v27, v9
	v_add_co_ci_u32_e64 v65, null, v55, v65, vcc_lo
	v_mov_b32_e32 v27, v26
	ds_write_b64 v0, v[64:65]
	ds_write_b64 v0, v[26:27]
.LBB2_95:                               ;   in Loop: Header=BB2_93 Depth=3
	s_or_b32 exec_lo, exec_lo, s14
	v_sub_nc_u32_e32 v27, v8, v9
	v_and_b32_e32 v55, 8, v96
	s_mov_b32 s15, exec_lo
	v_min_i32_e32 v54, v54, v27
	v_cmpx_ne_u32_e32 0, v55
	s_cbranch_execz .LBB2_117
; %bb.96:                               ;   in Loop: Header=BB2_93 Depth=3
	s_waitcnt vmcnt(0)
	v_add_co_u32 v66, vcc_lo, v22, 8
	v_add_co_ci_u32_e64 v67, null, 0, v23, vcc_lo
	v_add_co_u32 v64, vcc_lo, v50, 2
	v_add_co_ci_u32_e64 v65, null, 0, v51, vcc_lo
	s_mov_b32 s46, exec_lo
	v_cmpx_lt_u64_e64 v[66:67], v[64:65]
	s_cbranch_execz .LBB2_108
; %bb.97:                               ;   in Loop: Header=BB2_93 Depth=3
	v_and_b32_e32 v22, 64, v96
	s_mov_b32 s47, 0
	s_mov_b32 s59, 0
                                        ; implicit-def: $sgpr56
                                        ; implicit-def: $sgpr57
                                        ; implicit-def: $sgpr58
	v_cmp_eq_u32_e32 vcc_lo, 0, v22
	s_branch .LBB2_101
.LBB2_98:                               ;   in Loop: Header=BB2_101 Depth=4
	s_waitcnt vmcnt(0) lgkmcnt(0)
	v_add_co_u32 v66, s14, v22, 8
	v_add_co_ci_u32_e64 v67, null, 0, v23, s14
	s_or_b32 s62, s62, exec_lo
	v_cmp_ge_u64_e64 s14, v[66:67], v[64:65]
	s_orn2_b32 s61, s14, exec_lo
.LBB2_99:                               ;   in Loop: Header=BB2_101 Depth=4
	s_or_b32 exec_lo, exec_lo, s72
	s_andn2_b32 s14, s58, exec_lo
	s_and_b32 s58, s62, exec_lo
	s_andn2_b32 s57, s57, exec_lo
	s_and_b32 s61, s61, exec_lo
	s_or_b32 s58, s14, s58
	s_or_b32 s57, s57, s61
.LBB2_100:                              ;   in Loop: Header=BB2_101 Depth=4
	s_or_b32 exec_lo, exec_lo, s60
	s_and_b32 s14, exec_lo, s57
	s_or_b32 s47, s14, s47
	s_andn2_b32 s14, s56, exec_lo
	s_and_b32 s56, s58, exec_lo
	s_or_b32 s56, s14, s56
	s_andn2_b32 exec_lo, exec_lo, s47
	s_cbranch_execz .LBB2_105
.LBB2_101:                              ;   Parent Loop BB2_53 Depth=1
                                        ;     Parent Loop BB2_89 Depth=2
                                        ;       Parent Loop BB2_93 Depth=3
                                        ; =>      This Inner Loop Header: Depth=4
	s_sleep 1
	s_waitcnt vmcnt(0) lgkmcnt(0)
	flat_load_dwordx2 v[22:23], v[16:17] glc dlc
	s_or_b32 s58, s58, exec_lo
	s_or_b32 s57, s57, exec_lo
                                        ; implicit-def: $vgpr27
	s_and_saveexec_b32 s60, vcc_lo
	s_cbranch_execz .LBB2_100
; %bb.102:                              ;   in Loop: Header=BB2_101 Depth=4
	s_cmpk_lt_i32 s59, 0x270f
	s_mov_b32 s61, -1
	s_cselect_b32 s63, -1, 0
	s_cmpk_gt_i32 s59, 0x270e
	s_cbranch_scc0 .LBB2_104
; %bb.103:                              ;   in Loop: Header=BB2_101 Depth=4
	s_trap 2
	ds_read_b64 v[66:67], v0
	s_andn2_b32 s59, s63, exec_lo
	s_mov_b32 s62, 0
	s_waitcnt vmcnt(0) lgkmcnt(0)
	s_waitcnt_vscnt null, 0x0
	flat_load_dword v27, v[66:67] glc dlc
	s_waitcnt vmcnt(0) lgkmcnt(0)
	buffer_gl1_inv
	buffer_gl0_inv
	v_cmp_eq_u32_e64 s14, 0, v27
	s_and_b32 s14, s14, exec_lo
	s_or_b32 s63, s59, s14
	s_mov_b32 s59, 0
	s_and_saveexec_b32 s72, s63
	s_cbranch_execz .LBB2_99
	s_branch .LBB2_98
.LBB2_104:                              ;   in Loop: Header=BB2_101 Depth=4
	s_add_i32 s59, s59, 1
	s_mov_b32 s62, -1
                                        ; implicit-def: $vgpr27
	s_and_saveexec_b32 s72, s63
	s_cbranch_execz .LBB2_99
	s_branch .LBB2_98
.LBB2_105:                              ;   in Loop: Header=BB2_93 Depth=3
	s_or_b32 exec_lo, exec_lo, s47
	s_xor_b32 s14, s56, -1
	s_and_saveexec_b32 s47, s14
	s_xor_b32 s14, exec_lo, s47
	s_cbranch_execz .LBB2_107
; %bb.106:                              ;   in Loop: Header=BB2_93 Depth=3
	v_or_b32_e32 v96, 64, v96
	s_waitcnt vmcnt(0) lgkmcnt(0)
	s_waitcnt_vscnt null, 0x0
	ds_write_b32 v0, v27
	s_trap 2
.LBB2_107:                              ;   in Loop: Header=BB2_93 Depth=3
	s_or_b32 exec_lo, exec_lo, s14
.LBB2_108:                              ;   in Loop: Header=BB2_93 Depth=3
	s_or_b32 exec_lo, exec_lo, s46
	v_and_b32_e32 v27, 0x100, v96
	s_mov_b32 s14, -1
	;;#ASMSTART
	s_wakeup
	;;#ASMEND
	v_cmp_ne_u32_e32 vcc_lo, 0, v27
	v_and_b32_e32 v27, 7, v50
                                        ; implicit-def: $vgpr50_vgpr51
	s_and_saveexec_b32 s46, vcc_lo
	s_cbranch_execz .LBB2_112
; %bb.109:                              ;   in Loop: Header=BB2_93 Depth=3
	v_mad_u64_u32 v[66:67], null, v27, 24, v[4:5]
	v_ashrrev_i32_e32 v55, 31, v54
	flat_load_dword v50, v[66:67]
	flat_store_dwordx2 v[66:67], v[54:55] offset:8
	s_waitcnt vmcnt(0) lgkmcnt(1)
	v_cmp_eq_u32_e64 s14, 1, v50
	v_cmp_ne_u32_e32 vcc_lo, 1, v50
                                        ; implicit-def: $vgpr50_vgpr51
	s_and_saveexec_b32 s47, s14
	s_cbranch_execz .LBB2_111
; %bb.110:                              ;   in Loop: Header=BB2_93 Depth=3
	flat_load_dword v50, v[66:67] offset:4 glc dlc
	s_waitcnt vmcnt(0) lgkmcnt(0)
	v_ashrrev_i32_e32 v51, 31, v50
.LBB2_111:                              ;   in Loop: Header=BB2_93 Depth=3
	s_or_b32 exec_lo, exec_lo, s47
	s_orn2_b32 s14, vcc_lo, exec_lo
.LBB2_112:                              ;   in Loop: Header=BB2_93 Depth=3
	s_or_b32 exec_lo, exec_lo, s46
	s_and_saveexec_b32 s46, s14
; %bb.113:                              ;   in Loop: Header=BB2_93 Depth=3
	v_mad_i64_i32 v[50:51], null, v27, v97, 0
; %bb.114:                              ;   in Loop: Header=BB2_93 Depth=3
	s_or_b32 exec_lo, exec_lo, s46
	v_add_co_u32 v50, vcc_lo, v18, v50
	v_and_b32_e32 v27, 0x2000, v96
	v_add_co_ci_u32_e64 v51, null, v19, v51, vcc_lo
	s_mov_b32 s14, exec_lo
	ds_write_b64 v0, v[50:51] offset:784
	v_cmpx_ne_u32_e32 0, v27
	s_cbranch_execz .LBB2_116
; %bb.115:                              ;   in Loop: Header=BB2_93 Depth=3
	ds_read_b64 v[50:51], v0 offset:872
	s_waitcnt lgkmcnt(0)
	v_add_co_u32 v50, vcc_lo, v50, 1
	v_add_co_ci_u32_e64 v51, null, 0, v51, vcc_lo
	ds_write_b64 v0, v[50:51] offset:872
.LBB2_116:                              ;   in Loop: Header=BB2_93 Depth=3
	s_or_b32 exec_lo, exec_lo, s14
	v_mov_b32_e32 v50, v64
	v_mov_b32_e32 v51, v65
.LBB2_117:                              ;   in Loop: Header=BB2_93 Depth=3
	s_or_b32 exec_lo, exec_lo, s15
	s_and_saveexec_b32 s14, s5
	s_cbranch_execz .LBB2_136
; %bb.118:                              ;   in Loop: Header=BB2_93 Depth=3
	s_and_saveexec_b32 s15, s24
	s_xor_b32 s15, exec_lo, s15
	s_cbranch_execz .LBB2_133
; %bb.119:                              ;   in Loop: Header=BB2_93 Depth=3
	s_and_saveexec_b32 s46, s7
	s_cbranch_execz .LBB2_132
; %bb.120:                              ;   in Loop: Header=BB2_93 Depth=3
	s_mov_b32 s56, exec_lo
	s_mov_b32 s47, exec_lo
	v_mbcnt_lo_u32_b32 v27, s56, 0
	s_waitcnt vmcnt(0) lgkmcnt(0)
	s_waitcnt_vscnt null, 0x0
	buffer_gl1_inv
	buffer_gl0_inv
	v_cmpx_eq_u32_e32 0, v27
	s_cbranch_execz .LBB2_122
; %bb.121:                              ;   in Loop: Header=BB2_93 Depth=3
	s_bcnt1_i32_b32 s56, s56
	v_mov_b32_e32 v65, v26
	v_mov_b32_e32 v64, s56
	ds_add_u64 v0, v[64:65]
	s_trap 2
.LBB2_122:                              ;   in Loop: Header=BB2_93 Depth=3
	s_or_b32 exec_lo, exec_lo, s47
	s_trap 2
	ds_read_b64 v[64:65], v0
	s_waitcnt lgkmcnt(0)
	buffer_gl0_inv
	v_add_co_u32 v10, vcc_lo, v10, v98
	v_add_co_ci_u32_e64 v11, null, 0, v11, vcc_lo
	s_mov_b32 s47, exec_lo
	v_cmpx_lt_u64_e64 v[64:65], v[10:11]
	s_cbranch_execz .LBB2_131
; %bb.123:                              ;   in Loop: Header=BB2_93 Depth=3
	s_mov_b32 s56, 0
	s_mov_b32 s59, 0
                                        ; implicit-def: $sgpr57
                                        ; implicit-def: $sgpr58
	s_inst_prefetch 0x1
	s_branch .LBB2_125
	.p2align	6
.LBB2_124:                              ;   in Loop: Header=BB2_125 Depth=4
	s_or_b32 exec_lo, exec_lo, s61
	s_and_b32 s60, exec_lo, s62
	s_or_b32 s56, s60, s56
	s_andn2_b32 s57, s57, exec_lo
	s_and_b32 s60, s58, exec_lo
	s_or_b32 s57, s57, s60
	s_andn2_b32 exec_lo, exec_lo, s56
	s_cbranch_execz .LBB2_129
.LBB2_125:                              ;   Parent Loop BB2_53 Depth=1
                                        ;     Parent Loop BB2_89 Depth=2
                                        ;       Parent Loop BB2_93 Depth=3
                                        ; =>      This Inner Loop Header: Depth=4
	s_add_i32 s59, s59, 1
	s_cmpk_lg_i32 s59, 0x2710
	s_cselect_b32 s60, -1, 0
	s_and_b32 vcc_lo, exec_lo, s60
	s_cbranch_vccz .LBB2_127
; %bb.126:                              ;   in Loop: Header=BB2_125 Depth=4
	s_mov_b32 s62, -1
	s_or_b32 s58, s58, exec_lo
	s_and_saveexec_b32 s61, s60
	s_cbranch_execz .LBB2_124
	s_branch .LBB2_128
	.p2align	6
.LBB2_127:                              ;   in Loop: Header=BB2_125 Depth=4
	s_trap 2
	ds_read_b64 v[64:65], v0
	s_andn2_b32 s60, s60, exec_lo
	s_mov_b32 s59, 0
	s_waitcnt lgkmcnt(0)
	flat_load_dword v27, v[64:65] glc dlc
	s_waitcnt vmcnt(0) lgkmcnt(0)
	buffer_gl1_inv
	buffer_gl0_inv
	v_cmp_eq_u32_e32 vcc_lo, 0, v27
	s_and_b32 s61, vcc_lo, exec_lo
	s_or_b32 s60, s60, s61
	s_mov_b32 s62, -1
	s_or_b32 s58, s58, exec_lo
	s_and_saveexec_b32 s61, s60
	s_cbranch_execz .LBB2_124
.LBB2_128:                              ;   in Loop: Header=BB2_125 Depth=4
	s_sleep 1
	s_trap 2
	ds_read_b64 v[64:65], v0
	s_waitcnt lgkmcnt(0)
	buffer_gl0_inv
	s_andn2_b32 s58, s58, exec_lo
	v_cmp_ge_u64_e32 vcc_lo, v[64:65], v[10:11]
	s_orn2_b32 s62, vcc_lo, exec_lo
	s_branch .LBB2_124
.LBB2_129:                              ;   in Loop: Header=BB2_93 Depth=3
	s_inst_prefetch 0x2
	s_or_b32 exec_lo, exec_lo, s56
	s_and_saveexec_b32 s56, s57
	s_xor_b32 s56, exec_lo, s56
	s_cbranch_execz .LBB2_131
; %bb.130:                              ;   in Loop: Header=BB2_93 Depth=3
	ds_write_b32 v0, v115
	s_trap 2
.LBB2_131:                              ;   in Loop: Header=BB2_93 Depth=3
	s_or_b32 exec_lo, exec_lo, s47
	;;#ASMSTART
	s_wakeup
	;;#ASMEND
.LBB2_132:                              ;   in Loop: Header=BB2_93 Depth=3
	s_or_b32 exec_lo, exec_lo, s46
.LBB2_133:                              ;   in Loop: Header=BB2_93 Depth=3
	s_andn2_saveexec_b32 s15, s15
	s_cbranch_execz .LBB2_135
; %bb.134:                              ;   in Loop: Header=BB2_93 Depth=3
	s_waitcnt vmcnt(0) lgkmcnt(0)
	s_waitcnt_vscnt null, 0x0
	buffer_gl1_inv
	buffer_gl0_inv
	s_barrier
.LBB2_135:                              ;   in Loop: Header=BB2_93 Depth=3
	s_or_b32 exec_lo, exec_lo, s15
.LBB2_136:                              ;   in Loop: Header=BB2_93 Depth=3
	s_or_b32 exec_lo, exec_lo, s14
	s_trap 2
	ds_read_b32 v27, v0
	v_and_b32_e32 v55, 0x4000, v96
	s_xor_b32 s14, s10, -1
	v_cmp_ne_u32_e32 vcc_lo, 0, v55
	s_and_b32 s15, s14, vcc_lo
	s_and_saveexec_b32 s14, s15
	s_cbranch_execz .LBB2_155
; %bb.137:                              ;   in Loop: Header=BB2_93 Depth=3
	s_and_saveexec_b32 s15, s24
	s_xor_b32 s15, exec_lo, s15
	s_cbranch_execz .LBB2_152
; %bb.138:                              ;   in Loop: Header=BB2_93 Depth=3
	s_and_saveexec_b32 s46, s7
	s_cbranch_execz .LBB2_151
; %bb.139:                              ;   in Loop: Header=BB2_93 Depth=3
	s_mov_b32 s56, exec_lo
	s_mov_b32 s47, exec_lo
	v_mbcnt_lo_u32_b32 v55, s56, 0
	s_waitcnt vmcnt(0) lgkmcnt(0)
	s_waitcnt_vscnt null, 0x0
	buffer_gl1_inv
	buffer_gl0_inv
	v_cmpx_eq_u32_e32 0, v55
	s_cbranch_execz .LBB2_141
; %bb.140:                              ;   in Loop: Header=BB2_93 Depth=3
	s_bcnt1_i32_b32 s56, s56
	v_mov_b32_e32 v65, v26
	v_mov_b32_e32 v64, s56
	ds_add_u64 v0, v[64:65]
	s_trap 2
.LBB2_141:                              ;   in Loop: Header=BB2_93 Depth=3
	s_or_b32 exec_lo, exec_lo, s47
	s_trap 2
	ds_read_b64 v[64:65], v0
	s_waitcnt lgkmcnt(0)
	buffer_gl0_inv
	v_add_co_u32 v10, vcc_lo, v10, v98
	v_add_co_ci_u32_e64 v11, null, 0, v11, vcc_lo
	s_mov_b32 s47, exec_lo
	v_cmpx_lt_u64_e64 v[64:65], v[10:11]
	s_cbranch_execz .LBB2_150
; %bb.142:                              ;   in Loop: Header=BB2_93 Depth=3
	s_mov_b32 s56, 0
	s_mov_b32 s59, 0
                                        ; implicit-def: $sgpr57
                                        ; implicit-def: $sgpr58
	s_inst_prefetch 0x1
	s_branch .LBB2_144
	.p2align	6
.LBB2_143:                              ;   in Loop: Header=BB2_144 Depth=4
	s_or_b32 exec_lo, exec_lo, s61
	s_and_b32 s60, exec_lo, s62
	s_or_b32 s56, s60, s56
	s_andn2_b32 s57, s57, exec_lo
	s_and_b32 s60, s58, exec_lo
	s_or_b32 s57, s57, s60
	s_andn2_b32 exec_lo, exec_lo, s56
	s_cbranch_execz .LBB2_148
.LBB2_144:                              ;   Parent Loop BB2_53 Depth=1
                                        ;     Parent Loop BB2_89 Depth=2
                                        ;       Parent Loop BB2_93 Depth=3
                                        ; =>      This Inner Loop Header: Depth=4
	s_add_i32 s59, s59, 1
	s_cmpk_lg_i32 s59, 0x2710
	s_cselect_b32 s60, -1, 0
	s_and_b32 vcc_lo, exec_lo, s60
	s_cbranch_vccz .LBB2_146
; %bb.145:                              ;   in Loop: Header=BB2_144 Depth=4
	s_mov_b32 s62, -1
	s_or_b32 s58, s58, exec_lo
	s_and_saveexec_b32 s61, s60
	s_cbranch_execz .LBB2_143
	s_branch .LBB2_147
	.p2align	6
.LBB2_146:                              ;   in Loop: Header=BB2_144 Depth=4
	s_trap 2
	ds_read_b64 v[64:65], v0
	s_andn2_b32 s60, s60, exec_lo
	s_mov_b32 s59, 0
	s_waitcnt lgkmcnt(0)
	flat_load_dword v55, v[64:65] glc dlc
	s_waitcnt vmcnt(0) lgkmcnt(0)
	buffer_gl1_inv
	buffer_gl0_inv
	v_cmp_eq_u32_e32 vcc_lo, 0, v55
	s_and_b32 s61, vcc_lo, exec_lo
	s_or_b32 s60, s60, s61
	s_mov_b32 s62, -1
	s_or_b32 s58, s58, exec_lo
	s_and_saveexec_b32 s61, s60
	s_cbranch_execz .LBB2_143
.LBB2_147:                              ;   in Loop: Header=BB2_144 Depth=4
	s_sleep 1
	s_trap 2
	ds_read_b64 v[64:65], v0
	s_waitcnt lgkmcnt(0)
	buffer_gl0_inv
	s_andn2_b32 s58, s58, exec_lo
	v_cmp_ge_u64_e32 vcc_lo, v[64:65], v[10:11]
	s_orn2_b32 s62, vcc_lo, exec_lo
	s_branch .LBB2_143
.LBB2_148:                              ;   in Loop: Header=BB2_93 Depth=3
	s_inst_prefetch 0x2
	s_or_b32 exec_lo, exec_lo, s56
	s_and_saveexec_b32 s56, s57
	s_xor_b32 s56, exec_lo, s56
	s_cbranch_execz .LBB2_150
; %bb.149:                              ;   in Loop: Header=BB2_93 Depth=3
	ds_write_b32 v0, v115
	s_trap 2
.LBB2_150:                              ;   in Loop: Header=BB2_93 Depth=3
	s_or_b32 exec_lo, exec_lo, s47
	;;#ASMSTART
	s_wakeup
	;;#ASMEND
.LBB2_151:                              ;   in Loop: Header=BB2_93 Depth=3
	s_or_b32 exec_lo, exec_lo, s46
.LBB2_152:                              ;   in Loop: Header=BB2_93 Depth=3
	s_andn2_saveexec_b32 s15, s15
	s_cbranch_execz .LBB2_154
; %bb.153:                              ;   in Loop: Header=BB2_93 Depth=3
	s_waitcnt vmcnt(0) lgkmcnt(0)
	s_waitcnt_vscnt null, 0x0
	buffer_gl1_inv
	buffer_gl0_inv
	s_barrier
.LBB2_154:                              ;   in Loop: Header=BB2_93 Depth=3
	s_or_b32 exec_lo, exec_lo, s15
.LBB2_155:                              ;   in Loop: Header=BB2_93 Depth=3
	s_or_b32 exec_lo, exec_lo, s14
	s_trap 2
	ds_read_b64 v[64:65], v0
	s_waitcnt lgkmcnt(0)
	v_cmp_eq_u64_e32 vcc_lo, 0, v[64:65]
	s_cbranch_vccnz .LBB2_163
; %bb.156:                              ;   in Loop: Header=BB2_93 Depth=3
	s_trap 2
	ds_read_b64 v[66:67], v0
	s_waitcnt lgkmcnt(0)
	v_cmp_eq_u64_e32 vcc_lo, 0, v[66:67]
	s_cbranch_vccnz .LBB2_163
; %bb.157:                              ;   in Loop: Header=BB2_93 Depth=3
	s_mov_b32 s14, -1
	s_and_saveexec_b32 s15, s6
	s_cbranch_execz .LBB2_159
; %bb.158:                              ;   in Loop: Header=BB2_93 Depth=3
	ds_read_b32 v55, v0 offset:720
	s_waitcnt lgkmcnt(0)
	v_and_b32_e32 v55, 15, v55
	v_cmp_eq_u32_e32 vcc_lo, 0, v55
	s_orn2_b32 s14, vcc_lo, exec_lo
.LBB2_159:                              ;   in Loop: Header=BB2_93 Depth=3
	s_or_b32 exec_lo, exec_lo, s15
	s_and_saveexec_b32 s15, s11
	s_cbranch_execz .LBB2_161
; %bb.160:                              ;   in Loop: Header=BB2_93 Depth=3
	ds_read_b32 v55, v0 offset:784
	s_waitcnt lgkmcnt(0)
	v_and_b32_e32 v55, 15, v55
	v_cmp_eq_u32_e32 vcc_lo, 0, v55
	s_and_b32 s46, s14, vcc_lo
	s_andn2_b32 s14, s14, exec_lo
	s_and_b32 s46, s46, exec_lo
	s_or_b32 s14, s14, s46
.LBB2_161:                              ;   in Loop: Header=BB2_93 Depth=3
	s_or_b32 exec_lo, exec_lo, s15
	v_cmp_eq_u32_e32 vcc_lo, 0, v27
	s_xor_b32 s14, s14, -1
	v_mov_b32_e32 v69, v0
	v_cndmask_b32_e64 v55, 0, 1, s14
	v_mov_b32_e32 v83, v28
	v_cndmask_b32_e32 v27, 0, v54, vcc_lo
	s_mov_b32 s14, -1
	v_cmp_ne_u32_e32 vcc_lo, 0, v55
	v_mov_b32_e32 v55, 0
	v_mov_b32_e32 v68, v27
	s_cbranch_vccz .LBB2_164
; %bb.162:                              ;   in Loop: Header=BB2_93 Depth=3
	s_and_saveexec_b32 s15, s14
	s_cbranch_execnz .LBB2_177
	s_branch .LBB2_185
.LBB2_163:                              ;   in Loop: Header=BB2_93 Depth=3
	s_mov_b32 s14, 0
	s_and_saveexec_b32 s15, s5
	s_cbranch_execnz .LBB2_186
	s_branch .LBB2_204
.LBB2_164:                              ;   in Loop: Header=BB2_93 Depth=3
	v_ashrrev_i32_e32 v55, 31, v27
	s_mov_b32 s15, exec_lo
	v_lshrrev_b32_e32 v55, 22, v55
	v_add_nc_u32_e32 v55, v27, v55
	v_ashrrev_i32_e32 v55, 10, v55
	v_sub_nc_u32_e32 v71, v55, v28
	v_cmpx_lt_i32_e32 0, v71
	s_cbranch_execz .LBB2_168
; %bb.165:                              ;   in Loop: Header=BB2_93 Depth=3
	v_mov_b32_e32 v69, v35
	v_mov_b32_e32 v68, v34
	s_mov_b32 s46, 0
	.p2align	6
.LBB2_166:                              ;   Parent Loop BB2_53 Depth=1
                                        ;     Parent Loop BB2_89 Depth=2
                                        ;       Parent Loop BB2_93 Depth=3
                                        ; =>      This Inner Loop Header: Depth=4
	v_add_co_u32 v84, vcc_lo, v64, v68
	v_add_co_ci_u32_e64 v85, null, v65, v69, vcc_lo
	v_sub_nc_u32_e32 v71, v71, v98
	s_clause 0x1
	global_load_dwordx4 v[80:83], v[84:85], off slc
	global_load_dwordx4 v[41:44], v[84:85], off offset:512 slc
	v_add_co_u32 v84, vcc_lo, v66, v68
	v_add_co_ci_u32_e64 v85, null, v67, v69, vcc_lo
	v_cmp_gt_i32_e32 vcc_lo, 1, v71
	v_add_co_u32 v68, s14, v68, v99
	v_add_co_ci_u32_e64 v69, null, 0, v69, s14
	s_or_b32 s46, vcc_lo, s46
	s_waitcnt vmcnt(1)
	global_store_dwordx4 v[84:85], v[80:83], off glc slc
	s_waitcnt vmcnt(0)
	global_store_dwordx4 v[84:85], v[41:44], off offset:512 glc slc
	s_andn2_b32 exec_lo, exec_lo, s46
	s_cbranch_execnz .LBB2_166
; %bb.167:                              ;   in Loop: Header=BB2_93 Depth=3
	s_or_b32 exec_lo, exec_lo, s46
.LBB2_168:                              ;   in Loop: Header=BB2_93 Depth=3
	s_or_b32 exec_lo, exec_lo, s15
	v_lshlrev_b32_e32 v70, 10, v55
	v_mov_b32_e32 v55, 0
	s_mov_b32 s14, 0
	s_mov_b32 s46, exec_lo
                                        ; implicit-def: $vgpr68
                                        ; implicit-def: $vgpr69
                                        ; implicit-def: $vgpr83
	v_cmpx_ne_u32_e64 v27, v70
	s_cbranch_execz .LBB2_176
; %bb.169:                              ;   in Loop: Header=BB2_93 Depth=3
	v_lshlrev_b32_e32 v55, 5, v71
	v_sub_nc_u32_e32 v69, v27, v70
	s_mov_b32 s47, exec_lo
	v_sub_nc_u32_e32 v55, v100, v55
	v_ashrrev_i32_e32 v71, 31, v69
	v_ashrrev_i32_e32 v68, 31, v55
	v_lshrrev_b32_e32 v71, 23, v71
	v_lshrrev_b32_e32 v68, 27, v68
	v_add_nc_u32_e32 v82, v69, v71
	v_add_nc_u32_e32 v68, v55, v68
	v_and_b32_e32 v71, 0xfffffe00, v82
	v_ashrrev_i32_e32 v82, 9, v82
	v_and_b32_e32 v80, 0xffffffe0, v68
	v_sub_nc_u32_e32 v81, v69, v71
	v_ashrrev_i32_e32 v83, 5, v68
	v_sub_nc_u32_e32 v80, v55, v80
	v_cmp_lt_i32_e32 vcc_lo, 15, v81
	v_lshlrev_b32_e32 v55, 4, v80
	v_add_co_ci_u32_e64 v82, null, 0, v82, vcc_lo
	v_lshl_add_u32 v68, v83, 9, v55
	v_sub_nc_u32_e32 v82, v82, v83
	v_sub_nc_u32_e32 v55, v69, v68
	v_cmpx_lt_i32_e32 15, v55
	s_cbranch_execz .LBB2_173
; %bb.170:                              ;   in Loop: Header=BB2_93 Depth=3
	v_add_nc_u32_e32 v68, v68, v70
	s_mov_b32 s56, 0
	v_ashrrev_i32_e32 v69, 31, v68
	.p2align	6
.LBB2_171:                              ;   Parent Loop BB2_53 Depth=1
                                        ;     Parent Loop BB2_89 Depth=2
                                        ;       Parent Loop BB2_93 Depth=3
                                        ; =>      This Inner Loop Header: Depth=4
	v_add_co_u32 v83, s14, v64, v68
	v_add_co_ci_u32_e64 v84, null, v65, v69, s14
	v_sub_nc_u32_e32 v55, v55, v101
	v_sub_nc_u32_e32 v82, v82, v98
	global_load_dwordx4 v[41:44], v[83:84], off slc
	v_add_co_u32 v83, s14, v66, v68
	v_add_co_ci_u32_e64 v84, null, v67, v69, s14
	v_cmp_gt_i32_e64 s14, 16, v55
	v_add_co_u32 v68, s15, v68, v101
	v_add_co_ci_u32_e64 v69, null, 0, v69, s15
	s_or_b32 s56, s14, s56
	s_waitcnt vmcnt(0)
	global_store_dwordx4 v[83:84], v[41:44], off glc slc
	s_andn2_b32 exec_lo, exec_lo, s56
	s_cbranch_execnz .LBB2_171
; %bb.172:                              ;   in Loop: Header=BB2_93 Depth=3
	s_or_b32 exec_lo, exec_lo, s56
.LBB2_173:                              ;   in Loop: Header=BB2_93 Depth=3
	s_or_b32 exec_lo, exec_lo, s47
	v_and_b32_e32 v84, 15, v27
	v_mov_b32_e32 v55, 0
	s_mov_b32 s15, 0
	s_mov_b32 s47, exec_lo
                                        ; implicit-def: $vgpr69
                                        ; implicit-def: $vgpr83
	v_cndmask_b32_e32 v68, v81, v84, vcc_lo
	v_cmpx_ne_u32_e32 0, v68
	s_cbranch_execz .LBB2_175
; %bb.174:                              ;   in Loop: Header=BB2_93 Depth=3
	v_cmp_lt_i32_e64 s14, 0, v82
	s_mov_b32 s15, exec_lo
	v_cndmask_b32_e64 v55, 0, v98, s14
	v_sub_nc_u32_e32 v55, v55, v82
	v_lshl_add_u32 v69, v55, 5, v80
	v_sub_nc_u32_e32 v80, v81, v84
	v_ashrrev_i32_e32 v55, 31, v69
	v_cndmask_b32_e32 v80, 0, v80, vcc_lo
	v_lshrrev_b32_e32 v55, 27, v55
	v_add_nc_u32_e32 v81, v69, v55
	v_add3_u32 v55, v71, v70, v80
	v_ashrrev_i32_e32 v83, 5, v81
.LBB2_175:                              ;   in Loop: Header=BB2_93 Depth=3
	s_or_b32 exec_lo, exec_lo, s47
	s_and_b32 s14, s15, exec_lo
.LBB2_176:                              ;   in Loop: Header=BB2_93 Depth=3
	s_or_b32 exec_lo, exec_lo, s46
	s_and_saveexec_b32 s15, s14
	s_cbranch_execz .LBB2_185
.LBB2_177:                              ;   in Loop: Header=BB2_93 Depth=3
	v_ashrrev_i32_e32 v70, 31, v68
	v_ashrrev_i32_e32 v71, 31, v69
	s_mov_b32 s14, exec_lo
	v_add_nc_u32_sdwa v70, v68, v70 dst_sel:DWORD dst_unused:UNUSED_PAD src0_sel:DWORD src1_sel:BYTE_3
	v_lshrrev_b32_e32 v71, 27, v71
	v_ashrrev_i32_e32 v80, 8, v70
	v_sub_nc_u32_e32 v70, v80, v83
	v_cmpx_lt_i32_e32 0, v70
	s_cbranch_execz .LBB2_181
; %bb.178:                              ;   in Loop: Header=BB2_93 Depth=3
	v_add_nc_u32_e32 v81, v69, v71
	v_lshlrev_b32_e32 v82, 8, v83
	s_mov_b32 s46, 0
	v_and_b32_e32 v81, 0xffffffe0, v81
	v_sub_nc_u32_e32 v81, v69, v81
	v_add3_u32 v81, v55, v81, v82
	v_ashrrev_i32_e32 v82, 31, v81
.LBB2_179:                              ;   Parent Loop BB2_53 Depth=1
                                        ;     Parent Loop BB2_89 Depth=2
                                        ;       Parent Loop BB2_93 Depth=3
                                        ; =>      This Inner Loop Header: Depth=4
	v_add_co_u32 v83, vcc_lo, v81, v64
	v_add_co_ci_u32_e64 v84, null, v82, v65, vcc_lo
	v_sub_nc_u32_e32 v70, v70, v98
	s_clause 0x7
	flat_load_ubyte v85, v[83:84] slc
	flat_load_ubyte v41, v[83:84] offset:32 slc
	flat_load_ubyte v42, v[83:84] offset:64 slc
	;; [unrolled: 1-line block ×7, first 2 shown]
	v_add_co_u32 v83, vcc_lo, v81, v66
	v_add_co_ci_u32_e64 v84, null, v82, v67, vcc_lo
	v_add_co_u32 v64, vcc_lo, v64, v102
	v_add_co_ci_u32_e64 v65, null, 0, v65, vcc_lo
	;; [unrolled: 2-line block ×3, first 2 shown]
	v_cmp_gt_i32_e32 vcc_lo, 1, v70
	s_waitcnt vmcnt(7) lgkmcnt(7)
	flat_store_byte v[83:84], v85 glc slc
	s_waitcnt vmcnt(6) lgkmcnt(7)
	flat_store_byte v[83:84], v41 offset:32 glc slc
	s_waitcnt vmcnt(5) lgkmcnt(7)
	flat_store_byte v[83:84], v42 offset:64 glc slc
	;; [unrolled: 2-line block ×7, first 2 shown]
	s_or_b32 s46, vcc_lo, s46
	s_andn2_b32 exec_lo, exec_lo, s46
	s_cbranch_execnz .LBB2_179
; %bb.180:                              ;   in Loop: Header=BB2_93 Depth=3
	s_or_b32 exec_lo, exec_lo, s46
.LBB2_181:                              ;   in Loop: Header=BB2_93 Depth=3
	s_or_b32 exec_lo, exec_lo, s14
	v_lshlrev_b32_e32 v64, 8, v80
	v_cmp_ne_u32_e32 vcc_lo, v68, v64
	s_and_b32 exec_lo, exec_lo, vcc_lo
	s_cbranch_execz .LBB2_185
; %bb.182:                              ;   in Loop: Header=BB2_93 Depth=3
	v_add_nc_u32_e32 v65, v69, v71
	v_lshlrev_b32_e32 v66, 5, v70
	v_and_b32_e32 v65, 0xffffffe0, v65
	v_sub_nc_u32_e32 v65, v69, v65
	v_sub_nc_u32_e32 v65, v65, v66
	v_add_nc_u32_e32 v67, v64, v65
	v_sub_nc_u32_e32 v66, v68, v67
	v_cmp_lt_i32_e32 vcc_lo, 0, v66
	s_and_b32 exec_lo, exec_lo, vcc_lo
	s_cbranch_execz .LBB2_185
; %bb.183:                              ;   in Loop: Header=BB2_93 Depth=3
	s_trap 2
	ds_read_b64 v[64:65], v0
	v_add_nc_u32_e32 v55, v67, v55
	s_mov_b32 s46, 0
	v_ashrrev_i32_e32 v67, 31, v55
	.p2align	6
.LBB2_184:                              ;   Parent Loop BB2_53 Depth=1
                                        ;     Parent Loop BB2_89 Depth=2
                                        ;       Parent Loop BB2_93 Depth=3
                                        ; =>      This Inner Loop Header: Depth=4
	s_waitcnt lgkmcnt(0)
	v_add_co_u32 v68, vcc_lo, v64, v55
	v_add_co_ci_u32_e64 v69, null, v65, v67, vcc_lo
	v_sub_nc_u32_e32 v66, v66, v103
	v_add_co_u32 v55, s14, v55, v103
	flat_load_ubyte v70, v[68:69] slc
	v_add_co_ci_u32_e64 v67, null, 0, v67, s14
	v_cmp_gt_i32_e32 vcc_lo, 1, v66
	s_or_b32 s46, vcc_lo, s46
	s_waitcnt vmcnt(0) lgkmcnt(0)
	flat_store_byte v[68:69], v70 glc slc
	s_andn2_b32 exec_lo, exec_lo, s46
	s_cbranch_execnz .LBB2_184
.LBB2_185:                              ;   in Loop: Header=BB2_93 Depth=3
	s_or_b32 exec_lo, exec_lo, s15
	v_cmp_lt_i32_e64 s14, 0, v27
	s_and_saveexec_b32 s15, s5
	s_cbranch_execz .LBB2_204
.LBB2_186:                              ;   in Loop: Header=BB2_93 Depth=3
	s_and_saveexec_b32 s46, s24
	s_xor_b32 s46, exec_lo, s46
	s_cbranch_execz .LBB2_201
; %bb.187:                              ;   in Loop: Header=BB2_93 Depth=3
	s_and_saveexec_b32 s47, s7
	s_cbranch_execz .LBB2_200
; %bb.188:                              ;   in Loop: Header=BB2_93 Depth=3
	s_mov_b32 s57, exec_lo
	s_mov_b32 s56, exec_lo
	v_mbcnt_lo_u32_b32 v27, s57, 0
	s_waitcnt vmcnt(0) lgkmcnt(0)
	s_waitcnt_vscnt null, 0x0
	buffer_gl1_inv
	buffer_gl0_inv
	v_cmpx_eq_u32_e32 0, v27
	s_cbranch_execz .LBB2_190
; %bb.189:                              ;   in Loop: Header=BB2_93 Depth=3
	s_bcnt1_i32_b32 s57, s57
	v_mov_b32_e32 v65, v26
	v_mov_b32_e32 v64, s57
	ds_add_u64 v0, v[64:65]
	s_trap 2
.LBB2_190:                              ;   in Loop: Header=BB2_93 Depth=3
	s_or_b32 exec_lo, exec_lo, s56
	s_trap 2
	ds_read_b64 v[64:65], v0
	s_waitcnt lgkmcnt(0)
	buffer_gl0_inv
	v_add_co_u32 v10, vcc_lo, v10, v98
	v_add_co_ci_u32_e64 v11, null, 0, v11, vcc_lo
	s_mov_b32 s56, exec_lo
	v_cmpx_lt_u64_e64 v[64:65], v[10:11]
	s_cbranch_execz .LBB2_199
; %bb.191:                              ;   in Loop: Header=BB2_93 Depth=3
	s_mov_b32 s57, 0
	s_mov_b32 s60, 0
                                        ; implicit-def: $sgpr58
                                        ; implicit-def: $sgpr59
	s_inst_prefetch 0x1
	s_branch .LBB2_193
	.p2align	6
.LBB2_192:                              ;   in Loop: Header=BB2_193 Depth=4
	s_or_b32 exec_lo, exec_lo, s62
	s_and_b32 s61, exec_lo, s63
	s_or_b32 s57, s61, s57
	s_andn2_b32 s58, s58, exec_lo
	s_and_b32 s61, s59, exec_lo
	s_or_b32 s58, s58, s61
	s_andn2_b32 exec_lo, exec_lo, s57
	s_cbranch_execz .LBB2_197
.LBB2_193:                              ;   Parent Loop BB2_53 Depth=1
                                        ;     Parent Loop BB2_89 Depth=2
                                        ;       Parent Loop BB2_93 Depth=3
                                        ; =>      This Inner Loop Header: Depth=4
	s_add_i32 s60, s60, 1
	s_cmpk_lg_i32 s60, 0x2710
	s_cselect_b32 s61, -1, 0
	s_and_b32 vcc_lo, exec_lo, s61
	s_cbranch_vccz .LBB2_195
; %bb.194:                              ;   in Loop: Header=BB2_193 Depth=4
	s_mov_b32 s63, -1
	s_or_b32 s59, s59, exec_lo
	s_and_saveexec_b32 s62, s61
	s_cbranch_execz .LBB2_192
	s_branch .LBB2_196
	.p2align	6
.LBB2_195:                              ;   in Loop: Header=BB2_193 Depth=4
	s_trap 2
	ds_read_b64 v[64:65], v0
	s_andn2_b32 s61, s61, exec_lo
	s_mov_b32 s60, 0
	s_waitcnt lgkmcnt(0)
	flat_load_dword v27, v[64:65] glc dlc
	s_waitcnt vmcnt(0) lgkmcnt(0)
	buffer_gl1_inv
	buffer_gl0_inv
	v_cmp_eq_u32_e32 vcc_lo, 0, v27
	s_and_b32 s62, vcc_lo, exec_lo
	s_or_b32 s61, s61, s62
	s_mov_b32 s63, -1
	s_or_b32 s59, s59, exec_lo
	s_and_saveexec_b32 s62, s61
	s_cbranch_execz .LBB2_192
.LBB2_196:                              ;   in Loop: Header=BB2_193 Depth=4
	s_sleep 1
	s_trap 2
	ds_read_b64 v[64:65], v0
	s_waitcnt lgkmcnt(0)
	buffer_gl0_inv
	s_andn2_b32 s59, s59, exec_lo
	v_cmp_ge_u64_e32 vcc_lo, v[64:65], v[10:11]
	s_orn2_b32 s63, vcc_lo, exec_lo
	s_branch .LBB2_192
.LBB2_197:                              ;   in Loop: Header=BB2_93 Depth=3
	s_inst_prefetch 0x2
	s_or_b32 exec_lo, exec_lo, s57
	s_and_saveexec_b32 s57, s58
	s_xor_b32 s57, exec_lo, s57
	s_cbranch_execz .LBB2_199
; %bb.198:                              ;   in Loop: Header=BB2_93 Depth=3
	ds_write_b32 v0, v115
	s_trap 2
.LBB2_199:                              ;   in Loop: Header=BB2_93 Depth=3
	s_or_b32 exec_lo, exec_lo, s56
	;;#ASMSTART
	s_wakeup
	;;#ASMEND
.LBB2_200:                              ;   in Loop: Header=BB2_93 Depth=3
	s_or_b32 exec_lo, exec_lo, s47
.LBB2_201:                              ;   in Loop: Header=BB2_93 Depth=3
	s_andn2_saveexec_b32 s46, s46
	s_cbranch_execz .LBB2_203
; %bb.202:                              ;   in Loop: Header=BB2_93 Depth=3
	s_waitcnt vmcnt(0) lgkmcnt(0)
	s_waitcnt_vscnt null, 0x0
	buffer_gl1_inv
	buffer_gl0_inv
	s_barrier
.LBB2_203:                              ;   in Loop: Header=BB2_93 Depth=3
	s_or_b32 exec_lo, exec_lo, s46
.LBB2_204:                              ;   in Loop: Header=BB2_93 Depth=3
	s_or_b32 exec_lo, exec_lo, s15
	v_and_b32_e32 v27, 16, v96
	v_cmp_ne_u32_e32 vcc_lo, 0, v27
	s_and_b32 s15, vcc_lo, s14
	s_and_saveexec_b32 s14, s15
	s_cbranch_execz .LBB2_206
; %bb.205:                              ;   in Loop: Header=BB2_93 Depth=3
	s_waitcnt vmcnt(0) lgkmcnt(0)
	s_waitcnt_vscnt null, 0x0
	buffer_gl1_inv
	buffer_gl0_inv
.LBB2_206:                              ;   in Loop: Header=BB2_93 Depth=3
	s_or_b32 exec_lo, exec_lo, s14
	s_mov_b32 s14, exec_lo
	v_cmpx_ne_u32_e32 0, v27
	s_cbranch_execz .LBB2_92
; %bb.207:                              ;   in Loop: Header=BB2_93 Depth=3
	s_and_saveexec_b32 s15, s13
	s_cbranch_execz .LBB2_91
; %bb.208:                              ;   in Loop: Header=BB2_93 Depth=3
	s_waitcnt vmcnt(0) lgkmcnt(0)
	s_waitcnt_vscnt null, 0x0
	flat_store_dword v[20:21], v115
	s_branch .LBB2_91
.LBB2_209:                              ;   in Loop: Header=BB2_89 Depth=2
	s_or_b32 exec_lo, exec_lo, s43
.LBB2_210:                              ;   in Loop: Header=BB2_89 Depth=2
	s_or_b32 exec_lo, exec_lo, s42
	s_mov_b32 s15, exec_lo
	v_cmpx_gt_i32_e32 2, v27
	s_cbranch_execz .LBB2_261
; %bb.211:                              ;   in Loop: Header=BB2_89 Depth=2
	v_cmp_eq_u32_e64 s43, 0, v27
	s_mov_b32 s42, 0
	s_branch .LBB2_214
.LBB2_212:                              ;   in Loop: Header=BB2_214 Depth=3
	s_or_b32 exec_lo, exec_lo, s43
	v_add_co_u32 v50, vcc_lo, v50, 2
	v_add_co_ci_u32_e64 v51, null, 0, v51, vcc_lo
	s_waitcnt vmcnt(0) lgkmcnt(0)
	s_waitcnt_vscnt null, 0x0
	flat_store_dwordx2 v[16:17], v[50:51]
.LBB2_213:                              ;   in Loop: Header=BB2_214 Depth=3
	s_or_b32 exec_lo, exec_lo, s14
	v_add_nc_u32_e32 v9, v54, v9
	s_mov_b32 s43, 0
	s_andn2_b32 exec_lo, exec_lo, s42
	s_cbranch_execz .LBB2_260
.LBB2_214:                              ;   Parent Loop BB2_53 Depth=1
                                        ;     Parent Loop BB2_89 Depth=2
                                        ; =>    This Loop Header: Depth=3
                                        ;         Child Loop BB2_220 Depth 4
                                        ;         Child Loop BB2_244 Depth 4
	v_sub_nc_u32_e32 v27, v8, v9
	v_and_b32_e32 v55, 8, v96
	s_mov_b32 s44, exec_lo
	v_min_i32_e32 v54, v54, v27
	v_cmpx_ne_u32_e32 0, v55
	s_cbranch_execz .LBB2_236
; %bb.215:                              ;   in Loop: Header=BB2_214 Depth=3
	s_waitcnt vmcnt(0)
	v_add_co_u32 v66, vcc_lo, v22, 8
	v_add_co_ci_u32_e64 v67, null, 0, v23, vcc_lo
	v_add_co_u32 v64, vcc_lo, v50, 2
	v_add_co_ci_u32_e64 v65, null, 0, v51, vcc_lo
	s_mov_b32 s45, exec_lo
	v_cmpx_lt_u64_e64 v[66:67], v[64:65]
	s_cbranch_execz .LBB2_227
; %bb.216:                              ;   in Loop: Header=BB2_214 Depth=3
	v_and_b32_e32 v22, 64, v96
	s_mov_b32 s46, 0
	s_mov_b32 s58, 0
                                        ; implicit-def: $sgpr47
                                        ; implicit-def: $sgpr56
                                        ; implicit-def: $sgpr57
	v_cmp_eq_u32_e32 vcc_lo, 0, v22
	s_branch .LBB2_220
.LBB2_217:                              ;   in Loop: Header=BB2_220 Depth=4
	s_waitcnt vmcnt(0) lgkmcnt(0)
	v_add_co_u32 v66, s14, v22, 8
	v_add_co_ci_u32_e64 v67, null, 0, v23, s14
	s_or_b32 s61, s61, exec_lo
	v_cmp_ge_u64_e64 s14, v[66:67], v[64:65]
	s_orn2_b32 s60, s14, exec_lo
.LBB2_218:                              ;   in Loop: Header=BB2_220 Depth=4
	s_or_b32 exec_lo, exec_lo, s63
	s_andn2_b32 s14, s57, exec_lo
	s_and_b32 s57, s61, exec_lo
	s_andn2_b32 s56, s56, exec_lo
	s_and_b32 s60, s60, exec_lo
	s_or_b32 s57, s14, s57
	s_or_b32 s56, s56, s60
.LBB2_219:                              ;   in Loop: Header=BB2_220 Depth=4
	s_or_b32 exec_lo, exec_lo, s59
	s_and_b32 s14, exec_lo, s56
	s_or_b32 s46, s14, s46
	s_andn2_b32 s14, s47, exec_lo
	s_and_b32 s47, s57, exec_lo
	s_or_b32 s47, s14, s47
	s_andn2_b32 exec_lo, exec_lo, s46
	s_cbranch_execz .LBB2_224
.LBB2_220:                              ;   Parent Loop BB2_53 Depth=1
                                        ;     Parent Loop BB2_89 Depth=2
                                        ;       Parent Loop BB2_214 Depth=3
                                        ; =>      This Inner Loop Header: Depth=4
	s_sleep 1
	s_waitcnt vmcnt(0) lgkmcnt(0)
	flat_load_dwordx2 v[22:23], v[16:17] glc dlc
	s_or_b32 s57, s57, exec_lo
	s_or_b32 s56, s56, exec_lo
                                        ; implicit-def: $vgpr27
	s_and_saveexec_b32 s59, vcc_lo
	s_cbranch_execz .LBB2_219
; %bb.221:                              ;   in Loop: Header=BB2_220 Depth=4
	s_cmpk_lt_i32 s58, 0x270f
	s_mov_b32 s60, -1
	s_cselect_b32 s62, -1, 0
	s_cmpk_gt_i32 s58, 0x270e
	s_cbranch_scc0 .LBB2_223
; %bb.222:                              ;   in Loop: Header=BB2_220 Depth=4
	s_trap 2
	ds_read_b64 v[66:67], v0
	s_andn2_b32 s58, s62, exec_lo
	s_mov_b32 s61, 0
	s_waitcnt vmcnt(0) lgkmcnt(0)
	s_waitcnt_vscnt null, 0x0
	flat_load_dword v27, v[66:67] glc dlc
	s_waitcnt vmcnt(0) lgkmcnt(0)
	buffer_gl1_inv
	buffer_gl0_inv
	v_cmp_eq_u32_e64 s14, 0, v27
	s_and_b32 s14, s14, exec_lo
	s_or_b32 s62, s58, s14
	s_mov_b32 s58, 0
	s_and_saveexec_b32 s63, s62
	s_cbranch_execz .LBB2_218
	s_branch .LBB2_217
.LBB2_223:                              ;   in Loop: Header=BB2_220 Depth=4
	s_add_i32 s58, s58, 1
	s_mov_b32 s61, -1
                                        ; implicit-def: $vgpr27
	s_and_saveexec_b32 s63, s62
	s_cbranch_execz .LBB2_218
	s_branch .LBB2_217
.LBB2_224:                              ;   in Loop: Header=BB2_214 Depth=3
	s_or_b32 exec_lo, exec_lo, s46
	s_xor_b32 s14, s47, -1
	s_and_saveexec_b32 s46, s14
	s_xor_b32 s14, exec_lo, s46
	s_cbranch_execz .LBB2_226
; %bb.225:                              ;   in Loop: Header=BB2_214 Depth=3
	v_or_b32_e32 v96, 64, v96
	s_waitcnt vmcnt(0) lgkmcnt(0)
	s_waitcnt_vscnt null, 0x0
	ds_write_b32 v0, v27
	s_trap 2
.LBB2_226:                              ;   in Loop: Header=BB2_214 Depth=3
	s_or_b32 exec_lo, exec_lo, s14
.LBB2_227:                              ;   in Loop: Header=BB2_214 Depth=3
	s_or_b32 exec_lo, exec_lo, s45
	v_and_b32_e32 v27, 0x100, v96
	s_mov_b32 s14, -1
	;;#ASMSTART
	s_wakeup
	;;#ASMEND
	v_cmp_ne_u32_e32 vcc_lo, 0, v27
	v_and_b32_e32 v27, 7, v50
                                        ; implicit-def: $vgpr50_vgpr51
	s_and_saveexec_b32 s45, vcc_lo
	s_cbranch_execz .LBB2_231
; %bb.228:                              ;   in Loop: Header=BB2_214 Depth=3
	v_mad_u64_u32 v[66:67], null, v27, 24, v[4:5]
	v_ashrrev_i32_e32 v55, 31, v54
	flat_load_dword v50, v[66:67]
	flat_store_dwordx2 v[66:67], v[54:55] offset:8
	s_waitcnt vmcnt(0) lgkmcnt(1)
	v_cmp_eq_u32_e64 s14, 1, v50
	v_cmp_ne_u32_e32 vcc_lo, 1, v50
                                        ; implicit-def: $vgpr50_vgpr51
	s_and_saveexec_b32 s46, s14
	s_cbranch_execz .LBB2_230
; %bb.229:                              ;   in Loop: Header=BB2_214 Depth=3
	flat_load_dword v50, v[66:67] offset:4 glc dlc
	s_waitcnt vmcnt(0) lgkmcnt(0)
	v_ashrrev_i32_e32 v51, 31, v50
.LBB2_230:                              ;   in Loop: Header=BB2_214 Depth=3
	s_or_b32 exec_lo, exec_lo, s46
	s_orn2_b32 s14, vcc_lo, exec_lo
.LBB2_231:                              ;   in Loop: Header=BB2_214 Depth=3
	s_or_b32 exec_lo, exec_lo, s45
	s_and_saveexec_b32 s45, s14
; %bb.232:                              ;   in Loop: Header=BB2_214 Depth=3
	v_mad_i64_i32 v[50:51], null, v27, v97, 0
; %bb.233:                              ;   in Loop: Header=BB2_214 Depth=3
	s_or_b32 exec_lo, exec_lo, s45
	v_add_co_u32 v50, vcc_lo, v18, v50
	v_and_b32_e32 v27, 0x2000, v96
	v_add_co_ci_u32_e64 v51, null, v19, v51, vcc_lo
	s_mov_b32 s14, exec_lo
	ds_write_b64 v0, v[50:51] offset:784
	v_cmpx_ne_u32_e32 0, v27
	s_cbranch_execz .LBB2_235
; %bb.234:                              ;   in Loop: Header=BB2_214 Depth=3
	ds_read_b64 v[50:51], v0 offset:872
	s_waitcnt lgkmcnt(0)
	v_add_co_u32 v50, vcc_lo, v50, 1
	v_add_co_ci_u32_e64 v51, null, 0, v51, vcc_lo
	ds_write_b64 v0, v[50:51] offset:872
.LBB2_235:                              ;   in Loop: Header=BB2_214 Depth=3
	s_or_b32 exec_lo, exec_lo, s14
	v_mov_b32_e32 v50, v64
	v_mov_b32_e32 v51, v65
.LBB2_236:                              ;   in Loop: Header=BB2_214 Depth=3
	s_or_b32 exec_lo, exec_lo, s44
	s_xor_b32 s14, s43, -1
	s_and_b32 s14, exec_lo, s14
	s_or_b32 s42, s14, s42
	s_and_saveexec_b32 s14, s5
	s_cbranch_execz .LBB2_255
; %bb.237:                              ;   in Loop: Header=BB2_214 Depth=3
	s_and_saveexec_b32 s43, s24
	s_xor_b32 s43, exec_lo, s43
	s_cbranch_execz .LBB2_252
; %bb.238:                              ;   in Loop: Header=BB2_214 Depth=3
	s_and_saveexec_b32 s44, s7
	s_cbranch_execz .LBB2_251
; %bb.239:                              ;   in Loop: Header=BB2_214 Depth=3
	s_mov_b32 s46, exec_lo
	s_mov_b32 s45, exec_lo
	v_mbcnt_lo_u32_b32 v27, s46, 0
	s_waitcnt vmcnt(0) lgkmcnt(0)
	s_waitcnt_vscnt null, 0x0
	buffer_gl1_inv
	buffer_gl0_inv
	v_cmpx_eq_u32_e32 0, v27
	s_cbranch_execz .LBB2_241
; %bb.240:                              ;   in Loop: Header=BB2_214 Depth=3
	s_bcnt1_i32_b32 s46, s46
	v_mov_b32_e32 v65, v26
	v_mov_b32_e32 v64, s46
	ds_add_u64 v0, v[64:65]
	s_trap 2
.LBB2_241:                              ;   in Loop: Header=BB2_214 Depth=3
	s_or_b32 exec_lo, exec_lo, s45
	s_trap 2
	ds_read_b64 v[64:65], v0
	s_waitcnt lgkmcnt(0)
	buffer_gl0_inv
	v_add_co_u32 v10, vcc_lo, v10, v98
	v_add_co_ci_u32_e64 v11, null, 0, v11, vcc_lo
	s_mov_b32 s45, exec_lo
	v_cmpx_lt_u64_e64 v[64:65], v[10:11]
	s_cbranch_execz .LBB2_250
; %bb.242:                              ;   in Loop: Header=BB2_214 Depth=3
	s_mov_b32 s46, 0
	s_mov_b32 s57, 0
                                        ; implicit-def: $sgpr47
                                        ; implicit-def: $sgpr56
	s_inst_prefetch 0x1
	s_branch .LBB2_244
	.p2align	6
.LBB2_243:                              ;   in Loop: Header=BB2_244 Depth=4
	s_or_b32 exec_lo, exec_lo, s59
	s_and_b32 s58, exec_lo, s60
	s_or_b32 s46, s58, s46
	s_andn2_b32 s47, s47, exec_lo
	s_and_b32 s58, s56, exec_lo
	s_or_b32 s47, s47, s58
	s_andn2_b32 exec_lo, exec_lo, s46
	s_cbranch_execz .LBB2_248
.LBB2_244:                              ;   Parent Loop BB2_53 Depth=1
                                        ;     Parent Loop BB2_89 Depth=2
                                        ;       Parent Loop BB2_214 Depth=3
                                        ; =>      This Inner Loop Header: Depth=4
	s_add_i32 s57, s57, 1
	s_cmpk_lg_i32 s57, 0x2710
	s_cselect_b32 s58, -1, 0
	s_and_b32 vcc_lo, exec_lo, s58
	s_cbranch_vccz .LBB2_246
; %bb.245:                              ;   in Loop: Header=BB2_244 Depth=4
	s_mov_b32 s60, -1
	s_or_b32 s56, s56, exec_lo
	s_and_saveexec_b32 s59, s58
	s_cbranch_execz .LBB2_243
	s_branch .LBB2_247
	.p2align	6
.LBB2_246:                              ;   in Loop: Header=BB2_244 Depth=4
	s_trap 2
	ds_read_b64 v[64:65], v0
	s_andn2_b32 s58, s58, exec_lo
	s_mov_b32 s57, 0
	s_waitcnt lgkmcnt(0)
	flat_load_dword v27, v[64:65] glc dlc
	s_waitcnt vmcnt(0) lgkmcnt(0)
	buffer_gl1_inv
	buffer_gl0_inv
	v_cmp_eq_u32_e32 vcc_lo, 0, v27
	s_and_b32 s59, vcc_lo, exec_lo
	s_or_b32 s58, s58, s59
	s_mov_b32 s60, -1
	s_or_b32 s56, s56, exec_lo
	s_and_saveexec_b32 s59, s58
	s_cbranch_execz .LBB2_243
.LBB2_247:                              ;   in Loop: Header=BB2_244 Depth=4
	s_sleep 1
	s_trap 2
	ds_read_b64 v[64:65], v0
	s_waitcnt lgkmcnt(0)
	buffer_gl0_inv
	s_andn2_b32 s56, s56, exec_lo
	v_cmp_ge_u64_e32 vcc_lo, v[64:65], v[10:11]
	s_orn2_b32 s60, vcc_lo, exec_lo
	s_branch .LBB2_243
.LBB2_248:                              ;   in Loop: Header=BB2_214 Depth=3
	s_inst_prefetch 0x2
	s_or_b32 exec_lo, exec_lo, s46
	s_and_saveexec_b32 s46, s47
	s_xor_b32 s46, exec_lo, s46
	s_cbranch_execz .LBB2_250
; %bb.249:                              ;   in Loop: Header=BB2_214 Depth=3
	ds_write_b32 v0, v115
	s_trap 2
.LBB2_250:                              ;   in Loop: Header=BB2_214 Depth=3
	s_or_b32 exec_lo, exec_lo, s45
	;;#ASMSTART
	s_wakeup
	;;#ASMEND
.LBB2_251:                              ;   in Loop: Header=BB2_214 Depth=3
	s_or_b32 exec_lo, exec_lo, s44
.LBB2_252:                              ;   in Loop: Header=BB2_214 Depth=3
	s_andn2_saveexec_b32 s43, s43
	s_cbranch_execz .LBB2_254
; %bb.253:                              ;   in Loop: Header=BB2_214 Depth=3
	s_waitcnt vmcnt(0) lgkmcnt(0)
	s_waitcnt_vscnt null, 0x0
	buffer_gl1_inv
	buffer_gl0_inv
	s_barrier
.LBB2_254:                              ;   in Loop: Header=BB2_214 Depth=3
	s_or_b32 exec_lo, exec_lo, s43
.LBB2_255:                              ;   in Loop: Header=BB2_214 Depth=3
	s_or_b32 exec_lo, exec_lo, s14
	s_trap 2
	ds_read_b32 v27, v0
	v_cmp_lt_i32_e32 vcc_lo, 0, v54
	s_waitcnt lgkmcnt(0)
	v_readfirstlane_b32 s14, v27
	v_and_b32_e32 v27, 16, v96
	s_cmp_eq_u32 s14, 0
	v_cmp_ne_u32_e64 s14, 0, v27
	s_cselect_b32 s43, -1, 0
	s_and_b32 s43, vcc_lo, s43
	s_and_b32 s43, s14, s43
	s_and_saveexec_b32 s14, s43
	s_cbranch_execz .LBB2_257
; %bb.256:                              ;   in Loop: Header=BB2_214 Depth=3
	s_waitcnt vmcnt(0)
	s_waitcnt_vscnt null, 0x0
	buffer_gl1_inv
	buffer_gl0_inv
.LBB2_257:                              ;   in Loop: Header=BB2_214 Depth=3
	s_or_b32 exec_lo, exec_lo, s14
	s_mov_b32 s14, exec_lo
	v_cmpx_ne_u32_e32 0, v27
	s_cbranch_execz .LBB2_213
; %bb.258:                              ;   in Loop: Header=BB2_214 Depth=3
	s_and_saveexec_b32 s43, s13
	s_cbranch_execz .LBB2_212
; %bb.259:                              ;   in Loop: Header=BB2_214 Depth=3
	s_waitcnt vmcnt(0)
	s_waitcnt_vscnt null, 0x0
	flat_store_dword v[20:21], v115
	s_branch .LBB2_212
.LBB2_260:                              ;   in Loop: Header=BB2_89 Depth=2
	s_or_b32 exec_lo, exec_lo, s42
.LBB2_261:                              ;   in Loop: Header=BB2_89 Depth=2
	s_or_b32 exec_lo, exec_lo, s15
	s_andn2_b32 vcc_lo, exec_lo, s40
	s_cbranch_vccnz .LBB2_444
; %bb.262:                              ;   in Loop: Header=BB2_89 Depth=2
	v_max_i32_e32 v68, 0, v8
	s_mov_b32 s42, 0
	v_add_nc_u32_e32 v8, 31, v68
	v_lshrrev_b32_e32 v8, 1, v8
	v_and_b32_e32 v8, 0x3ffffff0, v8
	v_max_i32_e32 v69, s23, v8
	s_branch .LBB2_265
.LBB2_263:                              ;   in Loop: Header=BB2_265 Depth=3
	s_or_b32 exec_lo, exec_lo, s43
.LBB2_264:                              ;   in Loop: Header=BB2_265 Depth=3
	s_or_b32 exec_lo, exec_lo, s15
	s_add_i32 s42, s42, 1
	s_cmp_eq_u32 s42, s20
	s_cbranch_scc1 .LBB2_444
.LBB2_265:                              ;   Parent Loop BB2_53 Depth=1
                                        ;     Parent Loop BB2_89 Depth=2
                                        ; =>    This Loop Header: Depth=3
                                        ;         Child Loop BB2_268 Depth 4
                                        ;           Child Loop BB2_276 Depth 5
                                        ;           Child Loop BB2_304 Depth 5
	;; [unrolled: 1-line block ×8, first 2 shown]
                                        ;         Child Loop BB2_393 Depth 4
                                        ;           Child Loop BB2_399 Depth 5
                                        ;           Child Loop BB2_427 Depth 5
	v_mov_b32_e32 v9, 0
	v_mov_b32_e32 v8, v69
	;; [unrolled: 1-line block ×3, first 2 shown]
	s_and_saveexec_b32 s43, s41
	s_cbranch_execz .LBB2_390
; %bb.266:                              ;   in Loop: Header=BB2_265 Depth=3
	v_mov_b32_e32 v70, 0
	v_mov_b32_e32 v8, v69
	s_mov_b32 s46, 1
	s_mov_b32 s45, -1
	s_mov_b32 s44, 0
	s_branch .LBB2_268
.LBB2_267:                              ;   in Loop: Header=BB2_268 Depth=4
	s_or_b32 exec_lo, exec_lo, s14
	v_add_nc_u32_e32 v70, v8, v70
	s_xor_b32 s14, s45, -1
	v_mov_b32_e32 v9, s46
	s_mov_b32 s45, 0
	s_mov_b32 s46, 2
	v_cmp_ge_i32_e32 vcc_lo, v70, v68
	s_or_b32 s14, s14, vcc_lo
	s_and_b32 s14, exec_lo, s14
	s_or_b32 s44, s14, s44
	s_andn2_b32 exec_lo, exec_lo, s44
	s_cbranch_execz .LBB2_389
.LBB2_268:                              ;   Parent Loop BB2_53 Depth=1
                                        ;     Parent Loop BB2_89 Depth=2
                                        ;       Parent Loop BB2_265 Depth=3
                                        ; =>      This Loop Header: Depth=4
                                        ;           Child Loop BB2_276 Depth 5
                                        ;           Child Loop BB2_304 Depth 5
	;; [unrolled: 1-line block ×8, first 2 shown]
	s_and_saveexec_b32 s14, s4
	s_cbranch_execz .LBB2_270
; %bb.269:                              ;   in Loop: Header=BB2_268 Depth=4
	v_mov_b32_e32 v27, v26
	ds_write_b64 v0, v[26:27]
	s_trap 2
.LBB2_270:                              ;   in Loop: Header=BB2_268 Depth=4
	s_or_b32 exec_lo, exec_lo, s14
	v_sub_nc_u32_e32 v9, v68, v70
	v_and_b32_e32 v27, 12, v96
	s_mov_b32 s15, exec_lo
	v_min_i32_e32 v8, v8, v9
	v_cmpx_ne_u32_e32 0, v27
	s_cbranch_execz .LBB2_296
; %bb.271:                              ;   in Loop: Header=BB2_268 Depth=4
	v_and_b32_e32 v27, 8, v96
	s_mov_b32 s47, exec_lo
	s_waitcnt vmcnt(0)
	v_add_co_u32 v64, vcc_lo, v22, v27
	v_add_co_ci_u32_e64 v65, null, 0, v23, vcc_lo
	v_add_co_u32 v54, vcc_lo, v50, 2
	v_add_co_ci_u32_e64 v55, null, 0, v51, vcc_lo
	v_cmpx_lt_u64_e64 v[64:65], v[54:55]
	s_cbranch_execz .LBB2_283
; %bb.272:                              ;   in Loop: Header=BB2_268 Depth=4
	v_and_b32_e32 v9, 64, v96
	s_mov_b32 s56, 0
	s_mov_b32 s60, 0
                                        ; implicit-def: $sgpr57
                                        ; implicit-def: $sgpr58
                                        ; implicit-def: $sgpr59
	v_cmp_eq_u32_e32 vcc_lo, 0, v9
	s_branch .LBB2_276
.LBB2_273:                              ;   in Loop: Header=BB2_276 Depth=5
	s_waitcnt vmcnt(0) lgkmcnt(0)
	v_add_co_u32 v64, s14, v22, v27
	v_add_co_ci_u32_e64 v65, null, 0, v23, s14
	s_or_b32 s63, s63, exec_lo
	v_cmp_ge_u64_e64 s14, v[64:65], v[54:55]
	s_orn2_b32 s62, s14, exec_lo
.LBB2_274:                              ;   in Loop: Header=BB2_276 Depth=5
	s_or_b32 exec_lo, exec_lo, s73
	s_andn2_b32 s14, s59, exec_lo
	s_and_b32 s59, s63, exec_lo
	s_andn2_b32 s58, s58, exec_lo
	s_and_b32 s62, s62, exec_lo
	s_or_b32 s59, s14, s59
	s_or_b32 s58, s58, s62
.LBB2_275:                              ;   in Loop: Header=BB2_276 Depth=5
	s_or_b32 exec_lo, exec_lo, s61
	s_and_b32 s14, exec_lo, s58
	s_or_b32 s56, s14, s56
	s_andn2_b32 s14, s57, exec_lo
	s_and_b32 s57, s59, exec_lo
	s_or_b32 s57, s14, s57
	s_andn2_b32 exec_lo, exec_lo, s56
	s_cbranch_execz .LBB2_280
.LBB2_276:                              ;   Parent Loop BB2_53 Depth=1
                                        ;     Parent Loop BB2_89 Depth=2
                                        ;       Parent Loop BB2_265 Depth=3
                                        ;         Parent Loop BB2_268 Depth=4
                                        ; =>        This Inner Loop Header: Depth=5
	s_sleep 1
	s_waitcnt vmcnt(0) lgkmcnt(0)
	flat_load_dwordx2 v[22:23], v[16:17] glc dlc
	s_or_b32 s59, s59, exec_lo
	s_or_b32 s58, s58, exec_lo
                                        ; implicit-def: $vgpr9
	s_and_saveexec_b32 s61, vcc_lo
	s_cbranch_execz .LBB2_275
; %bb.277:                              ;   in Loop: Header=BB2_276 Depth=5
	s_cmpk_lt_i32 s60, 0x270f
	s_mov_b32 s62, -1
	s_cselect_b32 s72, -1, 0
	s_cmpk_gt_i32 s60, 0x270e
	s_cbranch_scc0 .LBB2_279
; %bb.278:                              ;   in Loop: Header=BB2_276 Depth=5
	s_trap 2
	ds_read_b64 v[64:65], v0
	s_andn2_b32 s60, s72, exec_lo
	s_mov_b32 s63, 0
	s_waitcnt vmcnt(0) lgkmcnt(0)
	s_waitcnt_vscnt null, 0x0
	flat_load_dword v9, v[64:65] glc dlc
	s_waitcnt vmcnt(0) lgkmcnt(0)
	buffer_gl1_inv
	buffer_gl0_inv
	v_cmp_eq_u32_e64 s14, 0, v9
	s_and_b32 s14, s14, exec_lo
	s_or_b32 s72, s60, s14
	s_mov_b32 s60, 0
	s_and_saveexec_b32 s73, s72
	s_cbranch_execz .LBB2_274
	s_branch .LBB2_273
.LBB2_279:                              ;   in Loop: Header=BB2_276 Depth=5
	s_add_i32 s60, s60, 1
	s_mov_b32 s63, -1
                                        ; implicit-def: $vgpr9
	s_and_saveexec_b32 s73, s72
	s_cbranch_execz .LBB2_274
	s_branch .LBB2_273
.LBB2_280:                              ;   in Loop: Header=BB2_268 Depth=4
	s_or_b32 exec_lo, exec_lo, s56
	s_xor_b32 s14, s57, -1
	s_and_saveexec_b32 s56, s14
	s_xor_b32 s14, exec_lo, s56
	s_cbranch_execz .LBB2_282
; %bb.281:                              ;   in Loop: Header=BB2_268 Depth=4
	v_or_b32_e32 v96, 64, v96
	s_waitcnt vmcnt(0) lgkmcnt(0)
	s_waitcnt_vscnt null, 0x0
	ds_write_b32 v0, v9
	s_trap 2
.LBB2_282:                              ;   in Loop: Header=BB2_268 Depth=4
	s_or_b32 exec_lo, exec_lo, s14
.LBB2_283:                              ;   in Loop: Header=BB2_268 Depth=4
	s_or_b32 exec_lo, exec_lo, s47
	v_and_b32_e32 v9, 0x108, v96
	v_and_b32_e32 v66, 7, v50
	s_mov_b32 s14, exec_lo
	;;#ASMSTART
	s_wakeup
	;;#ASMEND
	v_cmpx_ne_u32_e32 0x108, v9
	s_xor_b32 s14, exec_lo, s14
                                        ; implicit-def: $vgpr67
; %bb.284:                              ;   in Loop: Header=BB2_268 Depth=4
	v_mov_b32_e32 v67, v26
; %bb.285:                              ;   in Loop: Header=BB2_268 Depth=4
	s_andn2_saveexec_b32 s14, s14
	s_cbranch_execz .LBB2_287
; %bb.286:                              ;   in Loop: Header=BB2_268 Depth=4
	v_mad_u64_u32 v[50:51], null, v66, 24, v[4:5]
	v_ashrrev_i32_e32 v9, 31, v8
	v_mov_b32_e32 v67, v26
	flat_store_dwordx2 v[50:51], v[8:9] offset:8
.LBB2_287:                              ;   in Loop: Header=BB2_268 Depth=4
	s_or_b32 exec_lo, exec_lo, s14
	v_and_b32_e32 v9, 0x100, v96
	s_mov_b32 s14, -1
	s_mov_b32 s47, exec_lo
                                        ; implicit-def: $vgpr50_vgpr51
	v_cmpx_ne_u32_e32 0, v9
	s_cbranch_execz .LBB2_291
; %bb.288:                              ;   in Loop: Header=BB2_268 Depth=4
	v_mad_u64_u32 v[64:65], null, v66, 24, v[4:5]
	s_mov_b32 s56, exec_lo
	v_mov_b32_e32 v9, v65
	v_mad_u64_u32 v[50:51], null, v67, 24, v[9:10]
	v_mov_b32_e32 v65, v50
                                        ; implicit-def: $vgpr50_vgpr51
	flat_load_dword v9, v[64:65]
	s_waitcnt vmcnt(0) lgkmcnt(0)
	v_cmp_ne_u32_e32 vcc_lo, 1, v9
	v_cmpx_eq_u32_e32 1, v9
	s_cbranch_execz .LBB2_290
; %bb.289:                              ;   in Loop: Header=BB2_268 Depth=4
	flat_load_dword v50, v[64:65] offset:4 glc dlc
	s_waitcnt vmcnt(0) lgkmcnt(0)
	v_ashrrev_i32_e32 v51, 31, v50
.LBB2_290:                              ;   in Loop: Header=BB2_268 Depth=4
	s_or_b32 exec_lo, exec_lo, s56
	s_orn2_b32 s14, vcc_lo, exec_lo
.LBB2_291:                              ;   in Loop: Header=BB2_268 Depth=4
	s_or_b32 exec_lo, exec_lo, s47
	s_and_saveexec_b32 s47, s14
; %bb.292:                              ;   in Loop: Header=BB2_268 Depth=4
	v_mul_lo_u32 v9, v67, v97
	v_mul_lo_u32 v64, v66, v112
	v_mad_u64_u32 v[50:51], null, v66, v97, 0
	v_add3_u32 v51, v51, v64, v9
; %bb.293:                              ;   in Loop: Header=BB2_268 Depth=4
	s_or_b32 exec_lo, exec_lo, s47
	v_cmp_eq_u32_e32 vcc_lo, 0, v27
	v_and_b32_e32 v27, 0x2000, v96
	s_mov_b32 s14, exec_lo
	v_cndmask_b32_e32 v9, 0xc8, v116, vcc_lo
	v_add_co_u32 v50, vcc_lo, v18, v50
	v_add_co_ci_u32_e64 v51, null, v19, v51, vcc_lo
	v_add_nc_u32_e32 v9, v0, v9
	ds_write_b64 v9, v[50:51] offset:584
	v_cmpx_ne_u32_e32 0, v27
	s_cbranch_execz .LBB2_295
; %bb.294:                              ;   in Loop: Header=BB2_268 Depth=4
	ds_read_b64 v[50:51], v0 offset:872
	s_waitcnt lgkmcnt(0)
	v_add_co_u32 v50, vcc_lo, v50, 1
	v_add_co_ci_u32_e64 v51, null, 0, v51, vcc_lo
	ds_write_b64 v0, v[50:51] offset:872
.LBB2_295:                              ;   in Loop: Header=BB2_268 Depth=4
	s_or_b32 exec_lo, exec_lo, s14
	v_mov_b32_e32 v50, v54
	v_mov_b32_e32 v51, v55
.LBB2_296:                              ;   in Loop: Header=BB2_268 Depth=4
	s_or_b32 exec_lo, exec_lo, s15
	s_and_saveexec_b32 s14, s5
	s_cbranch_execz .LBB2_315
; %bb.297:                              ;   in Loop: Header=BB2_268 Depth=4
	s_and_saveexec_b32 s15, s24
	s_xor_b32 s15, exec_lo, s15
	s_cbranch_execz .LBB2_312
; %bb.298:                              ;   in Loop: Header=BB2_268 Depth=4
	s_and_saveexec_b32 s47, s7
	s_cbranch_execz .LBB2_311
; %bb.299:                              ;   in Loop: Header=BB2_268 Depth=4
	s_mov_b32 s57, exec_lo
	s_mov_b32 s56, exec_lo
	v_mbcnt_lo_u32_b32 v9, s57, 0
	s_waitcnt vmcnt(0) lgkmcnt(0)
	s_waitcnt_vscnt null, 0x0
	buffer_gl1_inv
	buffer_gl0_inv
	v_cmpx_eq_u32_e32 0, v9
	s_cbranch_execz .LBB2_301
; %bb.300:                              ;   in Loop: Header=BB2_268 Depth=4
	s_bcnt1_i32_b32 s57, s57
	v_mov_b32_e32 v55, v26
	v_mov_b32_e32 v54, s57
	ds_add_u64 v0, v[54:55]
	s_trap 2
.LBB2_301:                              ;   in Loop: Header=BB2_268 Depth=4
	s_or_b32 exec_lo, exec_lo, s56
	s_trap 2
	ds_read_b64 v[54:55], v0
	s_waitcnt lgkmcnt(0)
	buffer_gl0_inv
	v_add_co_u32 v10, vcc_lo, v10, v98
	v_add_co_ci_u32_e64 v11, null, 0, v11, vcc_lo
	s_mov_b32 s56, exec_lo
	v_cmpx_lt_u64_e64 v[54:55], v[10:11]
	s_cbranch_execz .LBB2_310
; %bb.302:                              ;   in Loop: Header=BB2_268 Depth=4
	s_mov_b32 s57, 0
	s_mov_b32 s60, 0
                                        ; implicit-def: $sgpr58
                                        ; implicit-def: $sgpr59
	s_inst_prefetch 0x1
	s_branch .LBB2_304
	.p2align	6
.LBB2_303:                              ;   in Loop: Header=BB2_304 Depth=5
	s_or_b32 exec_lo, exec_lo, s62
	s_and_b32 s61, exec_lo, s63
	s_or_b32 s57, s61, s57
	s_andn2_b32 s58, s58, exec_lo
	s_and_b32 s61, s59, exec_lo
	s_or_b32 s58, s58, s61
	s_andn2_b32 exec_lo, exec_lo, s57
	s_cbranch_execz .LBB2_308
.LBB2_304:                              ;   Parent Loop BB2_53 Depth=1
                                        ;     Parent Loop BB2_89 Depth=2
                                        ;       Parent Loop BB2_265 Depth=3
                                        ;         Parent Loop BB2_268 Depth=4
                                        ; =>        This Inner Loop Header: Depth=5
	s_add_i32 s60, s60, 1
	s_cmpk_lg_i32 s60, 0x2710
	s_cselect_b32 s61, -1, 0
	s_and_b32 vcc_lo, exec_lo, s61
	s_cbranch_vccz .LBB2_306
; %bb.305:                              ;   in Loop: Header=BB2_304 Depth=5
	s_mov_b32 s63, -1
	s_or_b32 s59, s59, exec_lo
	s_and_saveexec_b32 s62, s61
	s_cbranch_execz .LBB2_303
	s_branch .LBB2_307
	.p2align	6
.LBB2_306:                              ;   in Loop: Header=BB2_304 Depth=5
	s_trap 2
	ds_read_b64 v[54:55], v0
	s_andn2_b32 s61, s61, exec_lo
	s_mov_b32 s60, 0
	s_waitcnt lgkmcnt(0)
	flat_load_dword v9, v[54:55] glc dlc
	s_waitcnt vmcnt(0) lgkmcnt(0)
	buffer_gl1_inv
	buffer_gl0_inv
	v_cmp_eq_u32_e32 vcc_lo, 0, v9
	s_and_b32 s62, vcc_lo, exec_lo
	s_or_b32 s61, s61, s62
	s_mov_b32 s63, -1
	s_or_b32 s59, s59, exec_lo
	s_and_saveexec_b32 s62, s61
	s_cbranch_execz .LBB2_303
.LBB2_307:                              ;   in Loop: Header=BB2_304 Depth=5
	s_sleep 1
	s_trap 2
	ds_read_b64 v[54:55], v0
	s_waitcnt lgkmcnt(0)
	buffer_gl0_inv
	s_andn2_b32 s59, s59, exec_lo
	v_cmp_ge_u64_e32 vcc_lo, v[54:55], v[10:11]
	s_orn2_b32 s63, vcc_lo, exec_lo
	s_branch .LBB2_303
.LBB2_308:                              ;   in Loop: Header=BB2_268 Depth=4
	s_inst_prefetch 0x2
	s_or_b32 exec_lo, exec_lo, s57
	s_and_saveexec_b32 s57, s58
	s_xor_b32 s57, exec_lo, s57
	s_cbranch_execz .LBB2_310
; %bb.309:                              ;   in Loop: Header=BB2_268 Depth=4
	ds_write_b32 v0, v115
	s_trap 2
.LBB2_310:                              ;   in Loop: Header=BB2_268 Depth=4
	s_or_b32 exec_lo, exec_lo, s56
	;;#ASMSTART
	s_wakeup
	;;#ASMEND
.LBB2_311:                              ;   in Loop: Header=BB2_268 Depth=4
	s_or_b32 exec_lo, exec_lo, s47
.LBB2_312:                              ;   in Loop: Header=BB2_268 Depth=4
	s_andn2_saveexec_b32 s15, s15
	s_cbranch_execz .LBB2_314
; %bb.313:                              ;   in Loop: Header=BB2_268 Depth=4
	s_waitcnt vmcnt(0) lgkmcnt(0)
	s_waitcnt_vscnt null, 0x0
	buffer_gl1_inv
	buffer_gl0_inv
	s_barrier
.LBB2_314:                              ;   in Loop: Header=BB2_268 Depth=4
	s_or_b32 exec_lo, exec_lo, s15
.LBB2_315:                              ;   in Loop: Header=BB2_268 Depth=4
	s_or_b32 exec_lo, exec_lo, s14
	s_trap 2
	ds_read_b32 v9, v0
	v_and_b32_e32 v27, 0x4000, v96
	s_xor_b32 s14, s10, -1
	v_cmp_ne_u32_e32 vcc_lo, 0, v27
	s_and_b32 s15, s14, vcc_lo
	s_and_saveexec_b32 s14, s15
	s_cbranch_execz .LBB2_334
; %bb.316:                              ;   in Loop: Header=BB2_268 Depth=4
	s_and_saveexec_b32 s15, s24
	s_xor_b32 s15, exec_lo, s15
	s_cbranch_execz .LBB2_331
; %bb.317:                              ;   in Loop: Header=BB2_268 Depth=4
	s_and_saveexec_b32 s47, s7
	s_cbranch_execz .LBB2_330
; %bb.318:                              ;   in Loop: Header=BB2_268 Depth=4
	s_mov_b32 s57, exec_lo
	s_mov_b32 s56, exec_lo
	v_mbcnt_lo_u32_b32 v27, s57, 0
	s_waitcnt vmcnt(0) lgkmcnt(0)
	s_waitcnt_vscnt null, 0x0
	buffer_gl1_inv
	buffer_gl0_inv
	v_cmpx_eq_u32_e32 0, v27
	s_cbranch_execz .LBB2_320
; %bb.319:                              ;   in Loop: Header=BB2_268 Depth=4
	s_bcnt1_i32_b32 s57, s57
	v_mov_b32_e32 v55, v26
	v_mov_b32_e32 v54, s57
	ds_add_u64 v0, v[54:55]
	s_trap 2
.LBB2_320:                              ;   in Loop: Header=BB2_268 Depth=4
	s_or_b32 exec_lo, exec_lo, s56
	s_trap 2
	ds_read_b64 v[54:55], v0
	s_waitcnt lgkmcnt(0)
	buffer_gl0_inv
	v_add_co_u32 v10, vcc_lo, v10, v98
	v_add_co_ci_u32_e64 v11, null, 0, v11, vcc_lo
	s_mov_b32 s56, exec_lo
	v_cmpx_lt_u64_e64 v[54:55], v[10:11]
	s_cbranch_execz .LBB2_329
; %bb.321:                              ;   in Loop: Header=BB2_268 Depth=4
	s_mov_b32 s57, 0
	s_mov_b32 s60, 0
                                        ; implicit-def: $sgpr58
                                        ; implicit-def: $sgpr59
	s_inst_prefetch 0x1
	s_branch .LBB2_323
	.p2align	6
.LBB2_322:                              ;   in Loop: Header=BB2_323 Depth=5
	s_or_b32 exec_lo, exec_lo, s62
	s_and_b32 s61, exec_lo, s63
	s_or_b32 s57, s61, s57
	s_andn2_b32 s58, s58, exec_lo
	s_and_b32 s61, s59, exec_lo
	s_or_b32 s58, s58, s61
	s_andn2_b32 exec_lo, exec_lo, s57
	s_cbranch_execz .LBB2_327
.LBB2_323:                              ;   Parent Loop BB2_53 Depth=1
                                        ;     Parent Loop BB2_89 Depth=2
                                        ;       Parent Loop BB2_265 Depth=3
                                        ;         Parent Loop BB2_268 Depth=4
                                        ; =>        This Inner Loop Header: Depth=5
	s_add_i32 s60, s60, 1
	s_cmpk_lg_i32 s60, 0x2710
	s_cselect_b32 s61, -1, 0
	s_and_b32 vcc_lo, exec_lo, s61
	s_cbranch_vccz .LBB2_325
; %bb.324:                              ;   in Loop: Header=BB2_323 Depth=5
	s_mov_b32 s63, -1
	s_or_b32 s59, s59, exec_lo
	s_and_saveexec_b32 s62, s61
	s_cbranch_execz .LBB2_322
	s_branch .LBB2_326
	.p2align	6
.LBB2_325:                              ;   in Loop: Header=BB2_323 Depth=5
	s_trap 2
	ds_read_b64 v[54:55], v0
	s_andn2_b32 s61, s61, exec_lo
	s_mov_b32 s60, 0
	s_waitcnt lgkmcnt(0)
	flat_load_dword v27, v[54:55] glc dlc
	s_waitcnt vmcnt(0) lgkmcnt(0)
	buffer_gl1_inv
	buffer_gl0_inv
	v_cmp_eq_u32_e32 vcc_lo, 0, v27
	s_and_b32 s62, vcc_lo, exec_lo
	s_or_b32 s61, s61, s62
	s_mov_b32 s63, -1
	s_or_b32 s59, s59, exec_lo
	s_and_saveexec_b32 s62, s61
	s_cbranch_execz .LBB2_322
.LBB2_326:                              ;   in Loop: Header=BB2_323 Depth=5
	s_sleep 1
	s_trap 2
	ds_read_b64 v[54:55], v0
	s_waitcnt lgkmcnt(0)
	buffer_gl0_inv
	s_andn2_b32 s59, s59, exec_lo
	v_cmp_ge_u64_e32 vcc_lo, v[54:55], v[10:11]
	s_orn2_b32 s63, vcc_lo, exec_lo
	s_branch .LBB2_322
.LBB2_327:                              ;   in Loop: Header=BB2_268 Depth=4
	s_inst_prefetch 0x2
	s_or_b32 exec_lo, exec_lo, s57
	s_and_saveexec_b32 s57, s58
	s_xor_b32 s57, exec_lo, s57
	s_cbranch_execz .LBB2_329
; %bb.328:                              ;   in Loop: Header=BB2_268 Depth=4
	ds_write_b32 v0, v115
	s_trap 2
.LBB2_329:                              ;   in Loop: Header=BB2_268 Depth=4
	s_or_b32 exec_lo, exec_lo, s56
	;;#ASMSTART
	s_wakeup
	;;#ASMEND
.LBB2_330:                              ;   in Loop: Header=BB2_268 Depth=4
	s_or_b32 exec_lo, exec_lo, s47
.LBB2_331:                              ;   in Loop: Header=BB2_268 Depth=4
	s_andn2_saveexec_b32 s15, s15
	s_cbranch_execz .LBB2_333
; %bb.332:                              ;   in Loop: Header=BB2_268 Depth=4
	s_waitcnt vmcnt(0) lgkmcnt(0)
	s_waitcnt_vscnt null, 0x0
	buffer_gl1_inv
	buffer_gl0_inv
	s_barrier
.LBB2_333:                              ;   in Loop: Header=BB2_268 Depth=4
	s_or_b32 exec_lo, exec_lo, s15
.LBB2_334:                              ;   in Loop: Header=BB2_268 Depth=4
	s_or_b32 exec_lo, exec_lo, s14
	s_trap 2
	ds_read_b64 v[54:55], v0
	s_waitcnt lgkmcnt(0)
	v_cmp_eq_u64_e32 vcc_lo, 0, v[54:55]
	s_cbranch_vccnz .LBB2_342
; %bb.335:                              ;   in Loop: Header=BB2_268 Depth=4
	s_trap 2
	ds_read_b64 v[64:65], v0
	s_waitcnt lgkmcnt(0)
	v_cmp_eq_u64_e32 vcc_lo, 0, v[64:65]
	s_cbranch_vccnz .LBB2_342
; %bb.336:                              ;   in Loop: Header=BB2_268 Depth=4
	s_mov_b32 s14, -1
	s_and_saveexec_b32 s15, s11
	s_cbranch_execz .LBB2_338
; %bb.337:                              ;   in Loop: Header=BB2_268 Depth=4
	ds_read_b32 v27, v0 offset:720
	s_waitcnt lgkmcnt(0)
	v_and_b32_e32 v27, 15, v27
	v_cmp_eq_u32_e32 vcc_lo, 0, v27
	s_orn2_b32 s14, vcc_lo, exec_lo
.LBB2_338:                              ;   in Loop: Header=BB2_268 Depth=4
	s_or_b32 exec_lo, exec_lo, s15
	s_and_saveexec_b32 s15, s11
	s_cbranch_execz .LBB2_340
; %bb.339:                              ;   in Loop: Header=BB2_268 Depth=4
	ds_read_b32 v27, v0 offset:784
	s_waitcnt lgkmcnt(0)
	v_and_b32_e32 v27, 15, v27
	v_cmp_eq_u32_e32 vcc_lo, 0, v27
	s_and_b32 s47, s14, vcc_lo
	s_andn2_b32 s14, s14, exec_lo
	s_and_b32 s47, s47, exec_lo
	s_or_b32 s14, s14, s47
.LBB2_340:                              ;   in Loop: Header=BB2_268 Depth=4
	s_or_b32 exec_lo, exec_lo, s15
	v_cmp_eq_u32_e32 vcc_lo, 0, v9
	s_xor_b32 s14, s14, -1
	v_mov_b32_e32 v67, v0
	v_cndmask_b32_e64 v27, 0, 1, s14
	v_mov_b32_e32 v84, v28
	v_cndmask_b32_e32 v9, 0, v8, vcc_lo
	s_mov_b32 s14, -1
	v_cmp_ne_u32_e32 vcc_lo, 0, v27
	v_mov_b32_e32 v27, 0
	v_mov_b32_e32 v66, v9
	s_cbranch_vccz .LBB2_343
; %bb.341:                              ;   in Loop: Header=BB2_268 Depth=4
	s_and_saveexec_b32 s15, s14
	s_cbranch_execnz .LBB2_356
	s_branch .LBB2_364
.LBB2_342:                              ;   in Loop: Header=BB2_268 Depth=4
	s_mov_b32 s14, 0
	s_and_saveexec_b32 s15, s5
	s_cbranch_execnz .LBB2_365
	s_branch .LBB2_383
.LBB2_343:                              ;   in Loop: Header=BB2_268 Depth=4
	v_ashrrev_i32_e32 v27, 31, v9
	s_mov_b32 s15, exec_lo
	v_lshrrev_b32_e32 v27, 22, v27
	v_add_nc_u32_e32 v27, v9, v27
	v_ashrrev_i32_e32 v27, 10, v27
	v_sub_nc_u32_e32 v80, v27, v28
	v_cmpx_lt_i32_e32 0, v80
	s_cbranch_execz .LBB2_347
; %bb.344:                              ;   in Loop: Header=BB2_268 Depth=4
	v_mov_b32_e32 v67, v35
	v_mov_b32_e32 v66, v34
	s_mov_b32 s47, 0
	.p2align	6
.LBB2_345:                              ;   Parent Loop BB2_53 Depth=1
                                        ;     Parent Loop BB2_89 Depth=2
                                        ;       Parent Loop BB2_265 Depth=3
                                        ;         Parent Loop BB2_268 Depth=4
                                        ; =>        This Inner Loop Header: Depth=5
	v_add_co_u32 v41, vcc_lo, v54, v66
	v_add_co_ci_u32_e64 v42, null, v55, v67, vcc_lo
	v_sub_nc_u32_e32 v80, v80, v98
	v_add_co_u32 v45, vcc_lo, v64, v66
	s_clause 0x1
	global_load_dwordx4 v[81:84], v[41:42], off slc
	global_load_dwordx4 v[41:44], v[41:42], off offset:512 slc
	v_add_co_ci_u32_e64 v46, null, v65, v67, vcc_lo
	v_cmp_gt_i32_e32 vcc_lo, 1, v80
	v_add_co_u32 v66, s14, v66, v99
	v_add_co_ci_u32_e64 v67, null, 0, v67, s14
	s_or_b32 s47, vcc_lo, s47
	s_waitcnt vmcnt(1)
	global_store_dwordx4 v[45:46], v[81:84], off glc slc
	s_waitcnt vmcnt(0)
	global_store_dwordx4 v[45:46], v[41:44], off offset:512 glc slc
	s_andn2_b32 exec_lo, exec_lo, s47
	s_cbranch_execnz .LBB2_345
; %bb.346:                              ;   in Loop: Header=BB2_268 Depth=4
	s_or_b32 exec_lo, exec_lo, s47
.LBB2_347:                              ;   in Loop: Header=BB2_268 Depth=4
	s_or_b32 exec_lo, exec_lo, s15
	v_lshlrev_b32_e32 v71, 10, v27
	v_mov_b32_e32 v27, 0
	s_mov_b32 s14, 0
	s_mov_b32 s47, exec_lo
                                        ; implicit-def: $vgpr66
                                        ; implicit-def: $vgpr67
                                        ; implicit-def: $vgpr84
	v_cmpx_ne_u32_e64 v9, v71
	s_cbranch_execz .LBB2_355
; %bb.348:                              ;   in Loop: Header=BB2_268 Depth=4
	v_lshlrev_b32_e32 v27, 5, v80
	v_sub_nc_u32_e32 v67, v9, v71
	s_mov_b32 s56, exec_lo
	v_sub_nc_u32_e32 v27, v100, v27
	v_ashrrev_i32_e32 v80, 31, v67
	v_ashrrev_i32_e32 v66, 31, v27
	v_lshrrev_b32_e32 v80, 23, v80
	v_lshrrev_b32_e32 v66, 27, v66
	v_add_nc_u32_e32 v83, v67, v80
	v_add_nc_u32_e32 v66, v27, v66
	v_and_b32_e32 v80, 0xfffffe00, v83
	v_ashrrev_i32_e32 v83, 9, v83
	v_and_b32_e32 v81, 0xffffffe0, v66
	v_sub_nc_u32_e32 v82, v67, v80
	v_ashrrev_i32_e32 v84, 5, v66
	v_sub_nc_u32_e32 v81, v27, v81
	v_cmp_lt_i32_e32 vcc_lo, 15, v82
	v_lshlrev_b32_e32 v27, 4, v81
	v_add_co_ci_u32_e64 v83, null, 0, v83, vcc_lo
	v_lshl_add_u32 v66, v84, 9, v27
	v_sub_nc_u32_e32 v83, v83, v84
	v_sub_nc_u32_e32 v27, v67, v66
	v_cmpx_lt_i32_e32 15, v27
	s_cbranch_execz .LBB2_352
; %bb.349:                              ;   in Loop: Header=BB2_268 Depth=4
	v_add_nc_u32_e32 v66, v66, v71
	s_mov_b32 s57, 0
	v_ashrrev_i32_e32 v67, 31, v66
	.p2align	6
.LBB2_350:                              ;   Parent Loop BB2_53 Depth=1
                                        ;     Parent Loop BB2_89 Depth=2
                                        ;       Parent Loop BB2_265 Depth=3
                                        ;         Parent Loop BB2_268 Depth=4
                                        ; =>        This Inner Loop Header: Depth=5
	v_add_co_u32 v84, s14, v54, v66
	v_add_co_ci_u32_e64 v85, null, v55, v67, s14
	v_sub_nc_u32_e32 v27, v27, v101
	v_sub_nc_u32_e32 v83, v83, v98
	global_load_dwordx4 v[41:44], v[84:85], off slc
	v_add_co_u32 v84, s14, v64, v66
	v_add_co_ci_u32_e64 v85, null, v65, v67, s14
	v_cmp_gt_i32_e64 s14, 16, v27
	v_add_co_u32 v66, s15, v66, v101
	v_add_co_ci_u32_e64 v67, null, 0, v67, s15
	s_or_b32 s57, s14, s57
	s_waitcnt vmcnt(0)
	global_store_dwordx4 v[84:85], v[41:44], off glc slc
	s_andn2_b32 exec_lo, exec_lo, s57
	s_cbranch_execnz .LBB2_350
; %bb.351:                              ;   in Loop: Header=BB2_268 Depth=4
	s_or_b32 exec_lo, exec_lo, s57
.LBB2_352:                              ;   in Loop: Header=BB2_268 Depth=4
	s_or_b32 exec_lo, exec_lo, s56
	v_and_b32_e32 v85, 15, v9
	v_mov_b32_e32 v27, 0
	s_mov_b32 s15, 0
	s_mov_b32 s56, exec_lo
                                        ; implicit-def: $vgpr67
                                        ; implicit-def: $vgpr84
	v_cndmask_b32_e32 v66, v82, v85, vcc_lo
	v_cmpx_ne_u32_e32 0, v66
	s_cbranch_execz .LBB2_354
; %bb.353:                              ;   in Loop: Header=BB2_268 Depth=4
	v_cmp_lt_i32_e64 s14, 0, v83
	s_mov_b32 s15, exec_lo
	v_cndmask_b32_e64 v27, 0, v98, s14
	v_sub_nc_u32_e32 v27, v27, v83
	v_lshl_add_u32 v67, v27, 5, v81
	v_sub_nc_u32_e32 v81, v82, v85
	v_ashrrev_i32_e32 v27, 31, v67
	v_cndmask_b32_e32 v81, 0, v81, vcc_lo
	v_lshrrev_b32_e32 v27, 27, v27
	v_add_nc_u32_e32 v82, v67, v27
	v_add3_u32 v27, v80, v71, v81
	v_ashrrev_i32_e32 v84, 5, v82
.LBB2_354:                              ;   in Loop: Header=BB2_268 Depth=4
	s_or_b32 exec_lo, exec_lo, s56
	s_and_b32 s14, s15, exec_lo
.LBB2_355:                              ;   in Loop: Header=BB2_268 Depth=4
	s_or_b32 exec_lo, exec_lo, s47
	s_and_saveexec_b32 s15, s14
	s_cbranch_execz .LBB2_364
.LBB2_356:                              ;   in Loop: Header=BB2_268 Depth=4
	v_ashrrev_i32_e32 v71, 31, v66
	v_ashrrev_i32_e32 v80, 31, v67
	s_mov_b32 s14, exec_lo
	v_add_nc_u32_sdwa v71, v66, v71 dst_sel:DWORD dst_unused:UNUSED_PAD src0_sel:DWORD src1_sel:BYTE_3
	v_lshrrev_b32_e32 v80, 27, v80
	v_ashrrev_i32_e32 v81, 8, v71
	v_sub_nc_u32_e32 v71, v81, v84
	v_cmpx_lt_i32_e32 0, v71
	s_cbranch_execz .LBB2_360
; %bb.357:                              ;   in Loop: Header=BB2_268 Depth=4
	v_add_nc_u32_e32 v82, v67, v80
	v_lshlrev_b32_e32 v83, 8, v84
	s_mov_b32 s47, 0
	v_and_b32_e32 v82, 0xffffffe0, v82
	v_sub_nc_u32_e32 v82, v67, v82
	v_add3_u32 v82, v27, v82, v83
	v_ashrrev_i32_e32 v83, 31, v82
.LBB2_358:                              ;   Parent Loop BB2_53 Depth=1
                                        ;     Parent Loop BB2_89 Depth=2
                                        ;       Parent Loop BB2_265 Depth=3
                                        ;         Parent Loop BB2_268 Depth=4
                                        ; =>        This Inner Loop Header: Depth=5
	v_add_co_u32 v84, vcc_lo, v82, v54
	v_add_co_ci_u32_e64 v85, null, v83, v55, vcc_lo
	v_sub_nc_u32_e32 v71, v71, v98
	s_clause 0x7
	flat_load_ubyte v41, v[84:85] slc
	flat_load_ubyte v42, v[84:85] offset:32 slc
	flat_load_ubyte v43, v[84:85] offset:64 slc
	;; [unrolled: 1-line block ×7, first 2 shown]
	v_add_co_u32 v84, vcc_lo, v82, v64
	v_add_co_ci_u32_e64 v85, null, v83, v65, vcc_lo
	v_add_co_u32 v54, vcc_lo, v54, v102
	v_add_co_ci_u32_e64 v55, null, 0, v55, vcc_lo
	;; [unrolled: 2-line block ×3, first 2 shown]
	v_cmp_gt_i32_e32 vcc_lo, 1, v71
	s_waitcnt vmcnt(7) lgkmcnt(7)
	flat_store_byte v[84:85], v41 glc slc
	s_waitcnt vmcnt(6) lgkmcnt(7)
	flat_store_byte v[84:85], v42 offset:32 glc slc
	s_waitcnt vmcnt(5) lgkmcnt(7)
	flat_store_byte v[84:85], v43 offset:64 glc slc
	;; [unrolled: 2-line block ×7, first 2 shown]
	s_or_b32 s47, vcc_lo, s47
	s_andn2_b32 exec_lo, exec_lo, s47
	s_cbranch_execnz .LBB2_358
; %bb.359:                              ;   in Loop: Header=BB2_268 Depth=4
	s_or_b32 exec_lo, exec_lo, s47
.LBB2_360:                              ;   in Loop: Header=BB2_268 Depth=4
	s_or_b32 exec_lo, exec_lo, s14
	v_lshlrev_b32_e32 v54, 8, v81
	v_cmp_ne_u32_e32 vcc_lo, v66, v54
	s_and_b32 exec_lo, exec_lo, vcc_lo
	s_cbranch_execz .LBB2_364
; %bb.361:                              ;   in Loop: Header=BB2_268 Depth=4
	v_add_nc_u32_e32 v55, v67, v80
	v_lshlrev_b32_e32 v64, 5, v71
	v_and_b32_e32 v55, 0xffffffe0, v55
	v_sub_nc_u32_e32 v55, v67, v55
	v_sub_nc_u32_e32 v55, v55, v64
	v_add_nc_u32_e32 v65, v54, v55
	v_sub_nc_u32_e32 v64, v66, v65
	v_cmp_lt_i32_e32 vcc_lo, 0, v64
	s_and_b32 exec_lo, exec_lo, vcc_lo
	s_cbranch_execz .LBB2_364
; %bb.362:                              ;   in Loop: Header=BB2_268 Depth=4
	s_trap 2
	ds_read_b64 v[54:55], v0
	v_add_nc_u32_e32 v27, v65, v27
	s_mov_b32 s47, 0
	v_ashrrev_i32_e32 v65, 31, v27
	.p2align	6
.LBB2_363:                              ;   Parent Loop BB2_53 Depth=1
                                        ;     Parent Loop BB2_89 Depth=2
                                        ;       Parent Loop BB2_265 Depth=3
                                        ;         Parent Loop BB2_268 Depth=4
                                        ; =>        This Inner Loop Header: Depth=5
	s_waitcnt lgkmcnt(0)
	v_add_co_u32 v66, vcc_lo, v54, v27
	v_add_co_ci_u32_e64 v67, null, v55, v65, vcc_lo
	v_sub_nc_u32_e32 v64, v64, v103
	v_add_co_u32 v27, s14, v27, v103
	flat_load_ubyte v71, v[66:67] slc
	v_add_co_ci_u32_e64 v65, null, 0, v65, s14
	v_cmp_gt_i32_e32 vcc_lo, 1, v64
	s_or_b32 s47, vcc_lo, s47
	s_waitcnt vmcnt(0) lgkmcnt(0)
	flat_store_byte v[66:67], v71 glc slc
	s_andn2_b32 exec_lo, exec_lo, s47
	s_cbranch_execnz .LBB2_363
.LBB2_364:                              ;   in Loop: Header=BB2_268 Depth=4
	s_or_b32 exec_lo, exec_lo, s15
	v_cmp_lt_i32_e64 s14, 0, v9
	s_and_saveexec_b32 s15, s5
	s_cbranch_execz .LBB2_383
.LBB2_365:                              ;   in Loop: Header=BB2_268 Depth=4
	s_and_saveexec_b32 s47, s24
	s_xor_b32 s47, exec_lo, s47
	s_cbranch_execz .LBB2_380
; %bb.366:                              ;   in Loop: Header=BB2_268 Depth=4
	s_and_saveexec_b32 s56, s7
	s_cbranch_execz .LBB2_379
; %bb.367:                              ;   in Loop: Header=BB2_268 Depth=4
	s_mov_b32 s58, exec_lo
	s_mov_b32 s57, exec_lo
	v_mbcnt_lo_u32_b32 v9, s58, 0
	s_waitcnt vmcnt(0) lgkmcnt(0)
	s_waitcnt_vscnt null, 0x0
	buffer_gl1_inv
	buffer_gl0_inv
	v_cmpx_eq_u32_e32 0, v9
	s_cbranch_execz .LBB2_369
; %bb.368:                              ;   in Loop: Header=BB2_268 Depth=4
	s_bcnt1_i32_b32 s58, s58
	v_mov_b32_e32 v55, v26
	v_mov_b32_e32 v54, s58
	ds_add_u64 v0, v[54:55]
	s_trap 2
.LBB2_369:                              ;   in Loop: Header=BB2_268 Depth=4
	s_or_b32 exec_lo, exec_lo, s57
	s_trap 2
	ds_read_b64 v[54:55], v0
	s_waitcnt lgkmcnt(0)
	buffer_gl0_inv
	v_add_co_u32 v10, vcc_lo, v10, v98
	v_add_co_ci_u32_e64 v11, null, 0, v11, vcc_lo
	s_mov_b32 s57, exec_lo
	v_cmpx_lt_u64_e64 v[54:55], v[10:11]
	s_cbranch_execz .LBB2_378
; %bb.370:                              ;   in Loop: Header=BB2_268 Depth=4
	s_mov_b32 s58, 0
	s_mov_b32 s61, 0
                                        ; implicit-def: $sgpr59
                                        ; implicit-def: $sgpr60
	s_inst_prefetch 0x1
	s_branch .LBB2_372
	.p2align	6
.LBB2_371:                              ;   in Loop: Header=BB2_372 Depth=5
	s_or_b32 exec_lo, exec_lo, s63
	s_and_b32 s62, exec_lo, s72
	s_or_b32 s58, s62, s58
	s_andn2_b32 s59, s59, exec_lo
	s_and_b32 s62, s60, exec_lo
	s_or_b32 s59, s59, s62
	s_andn2_b32 exec_lo, exec_lo, s58
	s_cbranch_execz .LBB2_376
.LBB2_372:                              ;   Parent Loop BB2_53 Depth=1
                                        ;     Parent Loop BB2_89 Depth=2
                                        ;       Parent Loop BB2_265 Depth=3
                                        ;         Parent Loop BB2_268 Depth=4
                                        ; =>        This Inner Loop Header: Depth=5
	s_add_i32 s61, s61, 1
	s_cmpk_lg_i32 s61, 0x2710
	s_cselect_b32 s62, -1, 0
	s_and_b32 vcc_lo, exec_lo, s62
	s_cbranch_vccz .LBB2_374
; %bb.373:                              ;   in Loop: Header=BB2_372 Depth=5
	s_mov_b32 s72, -1
	s_or_b32 s60, s60, exec_lo
	s_and_saveexec_b32 s63, s62
	s_cbranch_execz .LBB2_371
	s_branch .LBB2_375
	.p2align	6
.LBB2_374:                              ;   in Loop: Header=BB2_372 Depth=5
	s_trap 2
	ds_read_b64 v[54:55], v0
	s_andn2_b32 s62, s62, exec_lo
	s_mov_b32 s61, 0
	s_waitcnt lgkmcnt(0)
	flat_load_dword v9, v[54:55] glc dlc
	s_waitcnt vmcnt(0) lgkmcnt(0)
	buffer_gl1_inv
	buffer_gl0_inv
	v_cmp_eq_u32_e32 vcc_lo, 0, v9
	s_and_b32 s63, vcc_lo, exec_lo
	s_or_b32 s62, s62, s63
	s_mov_b32 s72, -1
	s_or_b32 s60, s60, exec_lo
	s_and_saveexec_b32 s63, s62
	s_cbranch_execz .LBB2_371
.LBB2_375:                              ;   in Loop: Header=BB2_372 Depth=5
	s_sleep 1
	s_trap 2
	ds_read_b64 v[54:55], v0
	s_waitcnt lgkmcnt(0)
	buffer_gl0_inv
	s_andn2_b32 s60, s60, exec_lo
	v_cmp_ge_u64_e32 vcc_lo, v[54:55], v[10:11]
	s_orn2_b32 s72, vcc_lo, exec_lo
	s_branch .LBB2_371
.LBB2_376:                              ;   in Loop: Header=BB2_268 Depth=4
	s_inst_prefetch 0x2
	s_or_b32 exec_lo, exec_lo, s58
	s_and_saveexec_b32 s58, s59
	s_xor_b32 s58, exec_lo, s58
	s_cbranch_execz .LBB2_378
; %bb.377:                              ;   in Loop: Header=BB2_268 Depth=4
	ds_write_b32 v0, v115
	s_trap 2
.LBB2_378:                              ;   in Loop: Header=BB2_268 Depth=4
	s_or_b32 exec_lo, exec_lo, s57
	;;#ASMSTART
	s_wakeup
	;;#ASMEND
.LBB2_379:                              ;   in Loop: Header=BB2_268 Depth=4
	s_or_b32 exec_lo, exec_lo, s56
.LBB2_380:                              ;   in Loop: Header=BB2_268 Depth=4
	s_andn2_saveexec_b32 s47, s47
	s_cbranch_execz .LBB2_382
; %bb.381:                              ;   in Loop: Header=BB2_268 Depth=4
	s_waitcnt vmcnt(0) lgkmcnt(0)
	s_waitcnt_vscnt null, 0x0
	buffer_gl1_inv
	buffer_gl0_inv
	s_barrier
.LBB2_382:                              ;   in Loop: Header=BB2_268 Depth=4
	s_or_b32 exec_lo, exec_lo, s47
.LBB2_383:                              ;   in Loop: Header=BB2_268 Depth=4
	s_or_b32 exec_lo, exec_lo, s15
	v_and_b32_e32 v9, 16, v96
	v_cmp_ne_u32_e32 vcc_lo, 0, v9
	s_and_b32 s15, vcc_lo, s14
	s_and_saveexec_b32 s14, s15
	s_cbranch_execz .LBB2_385
; %bb.384:                              ;   in Loop: Header=BB2_268 Depth=4
	s_waitcnt vmcnt(0) lgkmcnt(0)
	s_waitcnt_vscnt null, 0x0
	buffer_gl1_inv
	buffer_gl0_inv
.LBB2_385:                              ;   in Loop: Header=BB2_268 Depth=4
	s_or_b32 exec_lo, exec_lo, s14
	v_cmp_ne_u32_e32 vcc_lo, 0, v9
	s_xor_b32 s14, s12, -1
	s_and_b32 s15, vcc_lo, s14
	s_and_saveexec_b32 s14, s15
	s_cbranch_execz .LBB2_387
; %bb.386:                              ;   in Loop: Header=BB2_268 Depth=4
	s_waitcnt vmcnt(0) lgkmcnt(0)
	s_waitcnt_vscnt null, 0x0
	flat_store_dword v[20:21], v115
.LBB2_387:                              ;   in Loop: Header=BB2_268 Depth=4
	s_or_b32 exec_lo, exec_lo, s14
	v_and_b32_e32 v9, 48, v96
	s_mov_b32 s14, exec_lo
	v_cmpx_ne_u32_e32 0, v9
	s_cbranch_execz .LBB2_267
; %bb.388:                              ;   in Loop: Header=BB2_268 Depth=4
	v_add_co_u32 v50, vcc_lo, v50, 2
	v_add_co_ci_u32_e64 v51, null, 0, v51, vcc_lo
	s_waitcnt vmcnt(0) lgkmcnt(0)
	s_waitcnt_vscnt null, 0x0
	flat_store_dwordx2 v[16:17], v[50:51]
	s_branch .LBB2_267
.LBB2_389:                              ;   in Loop: Header=BB2_265 Depth=3
	s_or_b32 exec_lo, exec_lo, s44
.LBB2_390:                              ;   in Loop: Header=BB2_265 Depth=3
	s_or_b32 exec_lo, exec_lo, s43
	s_mov_b32 s15, exec_lo
	v_cmpx_gt_i32_e32 2, v9
	s_cbranch_execz .LBB2_264
; %bb.391:                              ;   in Loop: Header=BB2_265 Depth=3
	v_cmp_eq_u32_e64 s44, 0, v9
	s_mov_b32 s43, 0
	s_branch .LBB2_393
.LBB2_392:                              ;   in Loop: Header=BB2_393 Depth=4
	s_or_b32 exec_lo, exec_lo, s14
	v_add_nc_u32_e32 v70, v8, v70
	s_mov_b32 s44, 0
	s_andn2_b32 exec_lo, exec_lo, s43
	s_cbranch_execz .LBB2_263
.LBB2_393:                              ;   Parent Loop BB2_53 Depth=1
                                        ;     Parent Loop BB2_89 Depth=2
                                        ;       Parent Loop BB2_265 Depth=3
                                        ; =>      This Loop Header: Depth=4
                                        ;           Child Loop BB2_399 Depth 5
                                        ;           Child Loop BB2_427 Depth 5
	v_sub_nc_u32_e32 v9, v68, v70
	v_and_b32_e32 v27, 12, v96
	s_mov_b32 s45, exec_lo
	v_min_i32_e32 v8, v8, v9
	v_cmpx_ne_u32_e32 0, v27
	s_cbranch_execz .LBB2_419
; %bb.394:                              ;   in Loop: Header=BB2_393 Depth=4
	v_and_b32_e32 v27, 8, v96
	s_mov_b32 s46, exec_lo
	s_waitcnt vmcnt(0)
	v_add_co_u32 v64, vcc_lo, v22, v27
	v_add_co_ci_u32_e64 v65, null, 0, v23, vcc_lo
	v_add_co_u32 v54, vcc_lo, v50, 2
	v_add_co_ci_u32_e64 v55, null, 0, v51, vcc_lo
	v_cmpx_lt_u64_e64 v[64:65], v[54:55]
	s_cbranch_execz .LBB2_406
; %bb.395:                              ;   in Loop: Header=BB2_393 Depth=4
	v_and_b32_e32 v9, 64, v96
	s_mov_b32 s47, 0
	s_mov_b32 s59, 0
                                        ; implicit-def: $sgpr56
                                        ; implicit-def: $sgpr57
                                        ; implicit-def: $sgpr58
	v_cmp_eq_u32_e32 vcc_lo, 0, v9
	s_branch .LBB2_399
.LBB2_396:                              ;   in Loop: Header=BB2_399 Depth=5
	s_waitcnt vmcnt(0) lgkmcnt(0)
	v_add_co_u32 v64, s14, v22, v27
	v_add_co_ci_u32_e64 v65, null, 0, v23, s14
	s_or_b32 s62, s62, exec_lo
	v_cmp_ge_u64_e64 s14, v[64:65], v[54:55]
	s_orn2_b32 s61, s14, exec_lo
.LBB2_397:                              ;   in Loop: Header=BB2_399 Depth=5
	s_or_b32 exec_lo, exec_lo, s72
	s_andn2_b32 s14, s58, exec_lo
	s_and_b32 s58, s62, exec_lo
	s_andn2_b32 s57, s57, exec_lo
	s_and_b32 s61, s61, exec_lo
	s_or_b32 s58, s14, s58
	s_or_b32 s57, s57, s61
.LBB2_398:                              ;   in Loop: Header=BB2_399 Depth=5
	s_or_b32 exec_lo, exec_lo, s60
	s_and_b32 s14, exec_lo, s57
	s_or_b32 s47, s14, s47
	s_andn2_b32 s14, s56, exec_lo
	s_and_b32 s56, s58, exec_lo
	s_or_b32 s56, s14, s56
	s_andn2_b32 exec_lo, exec_lo, s47
	s_cbranch_execz .LBB2_403
.LBB2_399:                              ;   Parent Loop BB2_53 Depth=1
                                        ;     Parent Loop BB2_89 Depth=2
                                        ;       Parent Loop BB2_265 Depth=3
                                        ;         Parent Loop BB2_393 Depth=4
                                        ; =>        This Inner Loop Header: Depth=5
	s_sleep 1
	s_waitcnt vmcnt(0) lgkmcnt(0)
	flat_load_dwordx2 v[22:23], v[16:17] glc dlc
	s_or_b32 s58, s58, exec_lo
	s_or_b32 s57, s57, exec_lo
                                        ; implicit-def: $vgpr9
	s_and_saveexec_b32 s60, vcc_lo
	s_cbranch_execz .LBB2_398
; %bb.400:                              ;   in Loop: Header=BB2_399 Depth=5
	s_cmpk_lt_i32 s59, 0x270f
	s_mov_b32 s61, -1
	s_cselect_b32 s63, -1, 0
	s_cmpk_gt_i32 s59, 0x270e
	s_cbranch_scc0 .LBB2_402
; %bb.401:                              ;   in Loop: Header=BB2_399 Depth=5
	s_trap 2
	ds_read_b64 v[64:65], v0
	s_andn2_b32 s59, s63, exec_lo
	s_mov_b32 s62, 0
	s_waitcnt vmcnt(0) lgkmcnt(0)
	s_waitcnt_vscnt null, 0x0
	flat_load_dword v9, v[64:65] glc dlc
	s_waitcnt vmcnt(0) lgkmcnt(0)
	buffer_gl1_inv
	buffer_gl0_inv
	v_cmp_eq_u32_e64 s14, 0, v9
	s_and_b32 s14, s14, exec_lo
	s_or_b32 s63, s59, s14
	s_mov_b32 s59, 0
	s_and_saveexec_b32 s72, s63
	s_cbranch_execz .LBB2_397
	s_branch .LBB2_396
.LBB2_402:                              ;   in Loop: Header=BB2_399 Depth=5
	s_add_i32 s59, s59, 1
	s_mov_b32 s62, -1
                                        ; implicit-def: $vgpr9
	s_and_saveexec_b32 s72, s63
	s_cbranch_execz .LBB2_397
	s_branch .LBB2_396
.LBB2_403:                              ;   in Loop: Header=BB2_393 Depth=4
	s_or_b32 exec_lo, exec_lo, s47
	s_xor_b32 s14, s56, -1
	s_and_saveexec_b32 s47, s14
	s_xor_b32 s14, exec_lo, s47
	s_cbranch_execz .LBB2_405
; %bb.404:                              ;   in Loop: Header=BB2_393 Depth=4
	v_or_b32_e32 v96, 64, v96
	s_waitcnt vmcnt(0) lgkmcnt(0)
	s_waitcnt_vscnt null, 0x0
	ds_write_b32 v0, v9
	s_trap 2
.LBB2_405:                              ;   in Loop: Header=BB2_393 Depth=4
	s_or_b32 exec_lo, exec_lo, s14
.LBB2_406:                              ;   in Loop: Header=BB2_393 Depth=4
	s_or_b32 exec_lo, exec_lo, s46
	v_and_b32_e32 v9, 0x108, v96
	v_and_b32_e32 v66, 7, v50
	s_mov_b32 s14, exec_lo
	;;#ASMSTART
	s_wakeup
	;;#ASMEND
	v_cmpx_ne_u32_e32 0x108, v9
	s_xor_b32 s14, exec_lo, s14
                                        ; implicit-def: $vgpr67
; %bb.407:                              ;   in Loop: Header=BB2_393 Depth=4
	v_mov_b32_e32 v67, v26
; %bb.408:                              ;   in Loop: Header=BB2_393 Depth=4
	s_andn2_saveexec_b32 s14, s14
	s_cbranch_execz .LBB2_410
; %bb.409:                              ;   in Loop: Header=BB2_393 Depth=4
	v_mad_u64_u32 v[50:51], null, v66, 24, v[4:5]
	v_ashrrev_i32_e32 v9, 31, v8
	v_mov_b32_e32 v67, v26
	flat_store_dwordx2 v[50:51], v[8:9] offset:8
.LBB2_410:                              ;   in Loop: Header=BB2_393 Depth=4
	s_or_b32 exec_lo, exec_lo, s14
	v_and_b32_e32 v9, 0x100, v96
	s_mov_b32 s14, -1
	s_mov_b32 s46, exec_lo
                                        ; implicit-def: $vgpr50_vgpr51
	v_cmpx_ne_u32_e32 0, v9
	s_cbranch_execz .LBB2_414
; %bb.411:                              ;   in Loop: Header=BB2_393 Depth=4
	v_mad_u64_u32 v[64:65], null, v66, 24, v[4:5]
	s_mov_b32 s47, exec_lo
	v_mov_b32_e32 v9, v65
	v_mad_u64_u32 v[50:51], null, v67, 24, v[9:10]
	v_mov_b32_e32 v65, v50
                                        ; implicit-def: $vgpr50_vgpr51
	flat_load_dword v9, v[64:65]
	s_waitcnt vmcnt(0) lgkmcnt(0)
	v_cmp_ne_u32_e32 vcc_lo, 1, v9
	v_cmpx_eq_u32_e32 1, v9
	s_cbranch_execz .LBB2_413
; %bb.412:                              ;   in Loop: Header=BB2_393 Depth=4
	flat_load_dword v50, v[64:65] offset:4 glc dlc
	s_waitcnt vmcnt(0) lgkmcnt(0)
	v_ashrrev_i32_e32 v51, 31, v50
.LBB2_413:                              ;   in Loop: Header=BB2_393 Depth=4
	s_or_b32 exec_lo, exec_lo, s47
	s_orn2_b32 s14, vcc_lo, exec_lo
.LBB2_414:                              ;   in Loop: Header=BB2_393 Depth=4
	s_or_b32 exec_lo, exec_lo, s46
	s_and_saveexec_b32 s46, s14
; %bb.415:                              ;   in Loop: Header=BB2_393 Depth=4
	v_mul_lo_u32 v9, v67, v97
	v_mul_lo_u32 v64, v66, v112
	v_mad_u64_u32 v[50:51], null, v66, v97, 0
	v_add3_u32 v51, v51, v64, v9
; %bb.416:                              ;   in Loop: Header=BB2_393 Depth=4
	s_or_b32 exec_lo, exec_lo, s46
	v_cmp_eq_u32_e32 vcc_lo, 0, v27
	v_and_b32_e32 v27, 0x2000, v96
	s_mov_b32 s14, exec_lo
	v_cndmask_b32_e32 v9, 0xc8, v116, vcc_lo
	v_add_co_u32 v50, vcc_lo, v18, v50
	v_add_co_ci_u32_e64 v51, null, v19, v51, vcc_lo
	v_add_nc_u32_e32 v9, v0, v9
	ds_write_b64 v9, v[50:51] offset:584
	v_cmpx_ne_u32_e32 0, v27
	s_cbranch_execz .LBB2_418
; %bb.417:                              ;   in Loop: Header=BB2_393 Depth=4
	ds_read_b64 v[50:51], v0 offset:872
	s_waitcnt lgkmcnt(0)
	v_add_co_u32 v50, vcc_lo, v50, 1
	v_add_co_ci_u32_e64 v51, null, 0, v51, vcc_lo
	ds_write_b64 v0, v[50:51] offset:872
.LBB2_418:                              ;   in Loop: Header=BB2_393 Depth=4
	s_or_b32 exec_lo, exec_lo, s14
	v_mov_b32_e32 v50, v54
	v_mov_b32_e32 v51, v55
.LBB2_419:                              ;   in Loop: Header=BB2_393 Depth=4
	s_or_b32 exec_lo, exec_lo, s45
	s_xor_b32 s14, s44, -1
	s_and_b32 s14, exec_lo, s14
	s_or_b32 s43, s14, s43
	s_and_saveexec_b32 s14, s5
	s_cbranch_execz .LBB2_438
; %bb.420:                              ;   in Loop: Header=BB2_393 Depth=4
	s_and_saveexec_b32 s44, s24
	s_xor_b32 s44, exec_lo, s44
	s_cbranch_execz .LBB2_435
; %bb.421:                              ;   in Loop: Header=BB2_393 Depth=4
	s_and_saveexec_b32 s45, s7
	s_cbranch_execz .LBB2_434
; %bb.422:                              ;   in Loop: Header=BB2_393 Depth=4
	s_mov_b32 s47, exec_lo
	s_mov_b32 s46, exec_lo
	v_mbcnt_lo_u32_b32 v9, s47, 0
	s_waitcnt vmcnt(0) lgkmcnt(0)
	s_waitcnt_vscnt null, 0x0
	buffer_gl1_inv
	buffer_gl0_inv
	v_cmpx_eq_u32_e32 0, v9
	s_cbranch_execz .LBB2_424
; %bb.423:                              ;   in Loop: Header=BB2_393 Depth=4
	s_bcnt1_i32_b32 s47, s47
	v_mov_b32_e32 v55, v26
	v_mov_b32_e32 v54, s47
	ds_add_u64 v0, v[54:55]
	s_trap 2
.LBB2_424:                              ;   in Loop: Header=BB2_393 Depth=4
	s_or_b32 exec_lo, exec_lo, s46
	s_trap 2
	ds_read_b64 v[54:55], v0
	s_waitcnt lgkmcnt(0)
	buffer_gl0_inv
	v_add_co_u32 v10, vcc_lo, v10, v98
	v_add_co_ci_u32_e64 v11, null, 0, v11, vcc_lo
	s_mov_b32 s46, exec_lo
	v_cmpx_lt_u64_e64 v[54:55], v[10:11]
	s_cbranch_execz .LBB2_433
; %bb.425:                              ;   in Loop: Header=BB2_393 Depth=4
	s_mov_b32 s47, 0
	s_mov_b32 s58, 0
                                        ; implicit-def: $sgpr56
                                        ; implicit-def: $sgpr57
	s_inst_prefetch 0x1
	s_branch .LBB2_427
	.p2align	6
.LBB2_426:                              ;   in Loop: Header=BB2_427 Depth=5
	s_or_b32 exec_lo, exec_lo, s60
	s_and_b32 s59, exec_lo, s61
	s_or_b32 s47, s59, s47
	s_andn2_b32 s56, s56, exec_lo
	s_and_b32 s59, s57, exec_lo
	s_or_b32 s56, s56, s59
	s_andn2_b32 exec_lo, exec_lo, s47
	s_cbranch_execz .LBB2_431
.LBB2_427:                              ;   Parent Loop BB2_53 Depth=1
                                        ;     Parent Loop BB2_89 Depth=2
                                        ;       Parent Loop BB2_265 Depth=3
                                        ;         Parent Loop BB2_393 Depth=4
                                        ; =>        This Inner Loop Header: Depth=5
	s_add_i32 s58, s58, 1
	s_cmpk_lg_i32 s58, 0x2710
	s_cselect_b32 s59, -1, 0
	s_and_b32 vcc_lo, exec_lo, s59
	s_cbranch_vccz .LBB2_429
; %bb.428:                              ;   in Loop: Header=BB2_427 Depth=5
	s_mov_b32 s61, -1
	s_or_b32 s57, s57, exec_lo
	s_and_saveexec_b32 s60, s59
	s_cbranch_execz .LBB2_426
	s_branch .LBB2_430
	.p2align	6
.LBB2_429:                              ;   in Loop: Header=BB2_427 Depth=5
	s_trap 2
	ds_read_b64 v[54:55], v0
	s_andn2_b32 s59, s59, exec_lo
	s_mov_b32 s58, 0
	s_waitcnt lgkmcnt(0)
	flat_load_dword v9, v[54:55] glc dlc
	s_waitcnt vmcnt(0) lgkmcnt(0)
	buffer_gl1_inv
	buffer_gl0_inv
	v_cmp_eq_u32_e32 vcc_lo, 0, v9
	s_and_b32 s60, vcc_lo, exec_lo
	s_or_b32 s59, s59, s60
	s_mov_b32 s61, -1
	s_or_b32 s57, s57, exec_lo
	s_and_saveexec_b32 s60, s59
	s_cbranch_execz .LBB2_426
.LBB2_430:                              ;   in Loop: Header=BB2_427 Depth=5
	s_sleep 1
	s_trap 2
	ds_read_b64 v[54:55], v0
	s_waitcnt lgkmcnt(0)
	buffer_gl0_inv
	s_andn2_b32 s57, s57, exec_lo
	v_cmp_ge_u64_e32 vcc_lo, v[54:55], v[10:11]
	s_orn2_b32 s61, vcc_lo, exec_lo
	s_branch .LBB2_426
.LBB2_431:                              ;   in Loop: Header=BB2_393 Depth=4
	s_inst_prefetch 0x2
	s_or_b32 exec_lo, exec_lo, s47
	s_and_saveexec_b32 s47, s56
	s_xor_b32 s47, exec_lo, s47
	s_cbranch_execz .LBB2_433
; %bb.432:                              ;   in Loop: Header=BB2_393 Depth=4
	ds_write_b32 v0, v115
	s_trap 2
.LBB2_433:                              ;   in Loop: Header=BB2_393 Depth=4
	s_or_b32 exec_lo, exec_lo, s46
	;;#ASMSTART
	s_wakeup
	;;#ASMEND
.LBB2_434:                              ;   in Loop: Header=BB2_393 Depth=4
	s_or_b32 exec_lo, exec_lo, s45
.LBB2_435:                              ;   in Loop: Header=BB2_393 Depth=4
	s_andn2_saveexec_b32 s44, s44
	s_cbranch_execz .LBB2_437
; %bb.436:                              ;   in Loop: Header=BB2_393 Depth=4
	s_waitcnt vmcnt(0) lgkmcnt(0)
	s_waitcnt_vscnt null, 0x0
	buffer_gl1_inv
	buffer_gl0_inv
	s_barrier
.LBB2_437:                              ;   in Loop: Header=BB2_393 Depth=4
	s_or_b32 exec_lo, exec_lo, s44
.LBB2_438:                              ;   in Loop: Header=BB2_393 Depth=4
	s_or_b32 exec_lo, exec_lo, s14
	s_trap 2
	ds_read_b32 v9, v0
	v_cmp_lt_i32_e32 vcc_lo, 0, v8
	s_waitcnt lgkmcnt(0)
	v_readfirstlane_b32 s14, v9
	v_and_b32_e32 v9, 16, v96
	s_cmp_eq_u32 s14, 0
	v_cmp_ne_u32_e64 s14, 0, v9
	s_cselect_b32 s44, -1, 0
	s_and_b32 s44, vcc_lo, s44
	s_and_b32 s44, s14, s44
	s_and_saveexec_b32 s14, s44
	s_cbranch_execz .LBB2_440
; %bb.439:                              ;   in Loop: Header=BB2_393 Depth=4
	s_waitcnt vmcnt(0)
	s_waitcnt_vscnt null, 0x0
	buffer_gl1_inv
	buffer_gl0_inv
.LBB2_440:                              ;   in Loop: Header=BB2_393 Depth=4
	s_or_b32 exec_lo, exec_lo, s14
	v_cmp_ne_u32_e32 vcc_lo, 0, v9
	s_xor_b32 s14, s12, -1
	s_and_b32 s44, vcc_lo, s14
	s_and_saveexec_b32 s14, s44
	s_cbranch_execz .LBB2_442
; %bb.441:                              ;   in Loop: Header=BB2_393 Depth=4
	s_waitcnt vmcnt(0)
	s_waitcnt_vscnt null, 0x0
	flat_store_dword v[20:21], v115
.LBB2_442:                              ;   in Loop: Header=BB2_393 Depth=4
	s_or_b32 exec_lo, exec_lo, s14
	v_and_b32_e32 v9, 48, v96
	s_mov_b32 s14, exec_lo
	v_cmpx_ne_u32_e32 0, v9
	s_cbranch_execz .LBB2_392
; %bb.443:                              ;   in Loop: Header=BB2_393 Depth=4
	v_add_co_u32 v50, vcc_lo, v50, 2
	v_add_co_ci_u32_e64 v51, null, 0, v51, vcc_lo
	s_waitcnt vmcnt(0) lgkmcnt(0)
	s_waitcnt_vscnt null, 0x0
	flat_store_dwordx2 v[16:17], v[50:51]
	s_branch .LBB2_392
.LBB2_444:                              ;   in Loop: Header=BB2_89 Depth=2
	v_add_co_u32 v68, vcc_lo, v6, v119
	v_add_co_ci_u32_e64 v69, null, v7, v40, vcc_lo
	v_mov_b32_e32 v67, 0
	v_max_i32_e32 v27, 0, v68
	v_cmp_lt_i32_e32 vcc_lo, 0, v68
	v_add_nc_u32_e32 v8, 31, v27
	s_and_b32 s14, s26, vcc_lo
	v_lshrrev_b32_e32 v8, 1, v8
	v_and_b32_e32 v9, 0x3ffffff0, v8
	v_mov_b32_e32 v8, 0
	v_max_i32_e32 v66, s23, v9
	s_and_saveexec_b32 s41, s14
	s_cbranch_execz .LBB2_563
; %bb.445:                              ;   in Loop: Header=BB2_89 Depth=2
	v_mov_b32_e32 v67, 0
	s_mov_b32 s44, 1
	s_mov_b32 s43, -1
	s_mov_b32 s42, 0
	s_branch .LBB2_447
.LBB2_446:                              ;   in Loop: Header=BB2_447 Depth=3
	s_or_b32 exec_lo, exec_lo, s14
	v_add_nc_u32_e32 v67, v66, v67
	s_xor_b32 s14, s43, -1
	v_mov_b32_e32 v8, s44
	s_mov_b32 s43, 0
	s_mov_b32 s44, 2
	v_cmp_ge_i32_e32 vcc_lo, v67, v27
	s_or_b32 s14, s14, vcc_lo
	s_and_b32 s14, exec_lo, s14
	s_or_b32 s42, s14, s42
	s_andn2_b32 exec_lo, exec_lo, s42
	s_cbranch_execz .LBB2_562
.LBB2_447:                              ;   Parent Loop BB2_53 Depth=1
                                        ;     Parent Loop BB2_89 Depth=2
                                        ; =>    This Loop Header: Depth=3
                                        ;         Child Loop BB2_455 Depth 4
                                        ;         Child Loop BB2_479 Depth 4
                                        ;         Child Loop BB2_498 Depth 4
                                        ;         Child Loop BB2_520 Depth 4
                                        ;         Child Loop BB2_525 Depth 4
                                        ;         Child Loop BB2_533 Depth 4
                                        ;         Child Loop BB2_538 Depth 4
                                        ;         Child Loop BB2_547 Depth 4
	s_and_saveexec_b32 s15, s4
	s_cbranch_execz .LBB2_449
; %bb.448:                              ;   in Loop: Header=BB2_447 Depth=3
	s_trap 2
	ds_read_b128 v[80:83], v0
	v_ashrrev_i32_e32 v9, 31, v67
	s_waitcnt lgkmcnt(0)
	v_add_co_u32 v8, vcc_lo, v82, v68
	v_add_co_ci_u32_e64 v54, null, v83, v69, vcc_lo
	v_add_co_u32 v55, vcc_lo, v80, v68
	v_add_co_ci_u32_e64 v64, null, v81, v69, vcc_lo
	;; [unrolled: 2-line block ×3, first 2 shown]
	v_cmp_ne_u64_e32 vcc_lo, 0, v[82:83]
	v_add_co_u32 v8, s14, v55, v67
	v_add_co_ci_u32_e64 v9, null, v64, v9, s14
	v_cndmask_b32_e32 v55, 0, v54, vcc_lo
	v_cndmask_b32_e32 v54, 0, v65, vcc_lo
	ds_write_b64 v0, v[8:9]
	ds_write_b64 v0, v[54:55]
.LBB2_449:                              ;   in Loop: Header=BB2_447 Depth=3
	s_or_b32 exec_lo, exec_lo, s15
	v_and_b32_e32 v8, 4, v96
	s_mov_b32 s15, exec_lo
	v_cmpx_ne_u32_e32 0, v8
	s_cbranch_execz .LBB2_471
; %bb.450:                              ;   in Loop: Header=BB2_447 Depth=3
	v_add_co_u32 v8, vcc_lo, v50, 2
	v_add_co_ci_u32_e64 v9, null, 0, v51, vcc_lo
	s_mov_b32 s45, exec_lo
	s_waitcnt vmcnt(0)
	v_cmpx_lt_u64_e64 v[22:23], v[8:9]
	s_cbranch_execz .LBB2_462
; %bb.451:                              ;   in Loop: Header=BB2_447 Depth=3
	v_and_b32_e32 v22, 64, v96
	s_mov_b32 s46, 0
	s_mov_b32 s58, 0
                                        ; implicit-def: $sgpr47
                                        ; implicit-def: $sgpr56
                                        ; implicit-def: $sgpr57
	v_cmp_eq_u32_e32 vcc_lo, 0, v22
	s_branch .LBB2_455
.LBB2_452:                              ;   in Loop: Header=BB2_455 Depth=4
	s_waitcnt vmcnt(0) lgkmcnt(0)
	v_cmp_ge_u64_e64 s14, v[22:23], v[8:9]
	s_or_b32 s61, s61, exec_lo
	s_orn2_b32 s60, s14, exec_lo
.LBB2_453:                              ;   in Loop: Header=BB2_455 Depth=4
	s_or_b32 exec_lo, exec_lo, s63
	s_andn2_b32 s14, s57, exec_lo
	s_and_b32 s57, s61, exec_lo
	s_andn2_b32 s56, s56, exec_lo
	s_and_b32 s60, s60, exec_lo
	s_or_b32 s57, s14, s57
	s_or_b32 s56, s56, s60
.LBB2_454:                              ;   in Loop: Header=BB2_455 Depth=4
	s_or_b32 exec_lo, exec_lo, s59
	s_and_b32 s14, exec_lo, s56
	s_or_b32 s46, s14, s46
	s_andn2_b32 s14, s47, exec_lo
	s_and_b32 s47, s57, exec_lo
	s_or_b32 s47, s14, s47
	s_andn2_b32 exec_lo, exec_lo, s46
	s_cbranch_execz .LBB2_459
.LBB2_455:                              ;   Parent Loop BB2_53 Depth=1
                                        ;     Parent Loop BB2_89 Depth=2
                                        ;       Parent Loop BB2_447 Depth=3
                                        ; =>      This Inner Loop Header: Depth=4
	s_sleep 1
	s_waitcnt vmcnt(0) lgkmcnt(0)
	flat_load_dwordx2 v[22:23], v[16:17] glc dlc
	s_or_b32 s57, s57, exec_lo
	s_or_b32 s56, s56, exec_lo
                                        ; implicit-def: $vgpr51
	s_and_saveexec_b32 s59, vcc_lo
	s_cbranch_execz .LBB2_454
; %bb.456:                              ;   in Loop: Header=BB2_455 Depth=4
	s_cmpk_lt_i32 s58, 0x270f
	s_mov_b32 s60, -1
	s_cselect_b32 s62, -1, 0
	s_cmpk_gt_i32 s58, 0x270e
	s_cbranch_scc0 .LBB2_458
; %bb.457:                              ;   in Loop: Header=BB2_455 Depth=4
	s_trap 2
	ds_read_b64 v[54:55], v0
	s_andn2_b32 s58, s62, exec_lo
	s_mov_b32 s61, 0
	s_waitcnt vmcnt(0) lgkmcnt(0)
	s_waitcnt_vscnt null, 0x0
	flat_load_dword v51, v[54:55] glc dlc
	s_waitcnt vmcnt(0) lgkmcnt(0)
	buffer_gl1_inv
	buffer_gl0_inv
	v_cmp_eq_u32_e64 s14, 0, v51
	s_and_b32 s14, s14, exec_lo
	s_or_b32 s62, s58, s14
	s_mov_b32 s58, 0
	s_and_saveexec_b32 s63, s62
	s_cbranch_execz .LBB2_453
	s_branch .LBB2_452
.LBB2_458:                              ;   in Loop: Header=BB2_455 Depth=4
	s_add_i32 s58, s58, 1
	s_mov_b32 s61, -1
                                        ; implicit-def: $vgpr51
	s_and_saveexec_b32 s63, s62
	s_cbranch_execz .LBB2_453
	s_branch .LBB2_452
.LBB2_459:                              ;   in Loop: Header=BB2_447 Depth=3
	s_or_b32 exec_lo, exec_lo, s46
	s_xor_b32 s14, s47, -1
	s_and_saveexec_b32 s46, s14
	s_xor_b32 s14, exec_lo, s46
	s_cbranch_execz .LBB2_461
; %bb.460:                              ;   in Loop: Header=BB2_447 Depth=3
	v_or_b32_e32 v96, 64, v96
	s_waitcnt vmcnt(0) lgkmcnt(0)
	s_waitcnt_vscnt null, 0x0
	ds_write_b32 v0, v51
	s_trap 2
.LBB2_461:                              ;   in Loop: Header=BB2_447 Depth=3
	s_or_b32 exec_lo, exec_lo, s14
.LBB2_462:                              ;   in Loop: Header=BB2_447 Depth=3
	s_or_b32 exec_lo, exec_lo, s45
	v_and_b32_e32 v51, 0x100, v96
	v_and_b32_e32 v64, 7, v50
	s_mov_b32 s14, -1
	;;#ASMSTART
	s_wakeup
	;;#ASMEND
	v_cmp_ne_u32_e32 vcc_lo, 0, v51
                                        ; implicit-def: $vgpr50_vgpr51
	s_and_saveexec_b32 s45, vcc_lo
	s_cbranch_execz .LBB2_466
; %bb.463:                              ;   in Loop: Header=BB2_447 Depth=3
	v_mad_u64_u32 v[54:55], null, v64, 24, v[4:5]
	flat_load_dword v50, v[54:55]
	s_waitcnt vmcnt(0) lgkmcnt(0)
	v_cmp_eq_u32_e64 s14, 1, v50
	v_cmp_ne_u32_e32 vcc_lo, 1, v50
                                        ; implicit-def: $vgpr50_vgpr51
	s_and_saveexec_b32 s46, s14
	s_cbranch_execz .LBB2_465
; %bb.464:                              ;   in Loop: Header=BB2_447 Depth=3
	flat_load_dword v50, v[54:55] offset:4 glc dlc
	s_waitcnt vmcnt(0) lgkmcnt(0)
	v_ashrrev_i32_e32 v51, 31, v50
.LBB2_465:                              ;   in Loop: Header=BB2_447 Depth=3
	s_or_b32 exec_lo, exec_lo, s46
	s_orn2_b32 s14, vcc_lo, exec_lo
.LBB2_466:                              ;   in Loop: Header=BB2_447 Depth=3
	s_or_b32 exec_lo, exec_lo, s45
	s_and_saveexec_b32 s45, s14
; %bb.467:                              ;   in Loop: Header=BB2_447 Depth=3
	v_mad_i64_i32 v[50:51], null, v64, v97, 0
; %bb.468:                              ;   in Loop: Header=BB2_447 Depth=3
	s_or_b32 exec_lo, exec_lo, s45
	v_add_co_u32 v50, vcc_lo, v18, v50
	v_and_b32_e32 v54, 0x2000, v96
	v_add_co_ci_u32_e64 v51, null, v19, v51, vcc_lo
	s_mov_b32 s14, exec_lo
	ds_write_b64 v0, v[50:51] offset:720
	v_cmpx_ne_u32_e32 0, v54
	s_cbranch_execz .LBB2_470
; %bb.469:                              ;   in Loop: Header=BB2_447 Depth=3
	ds_read_b64 v[50:51], v0 offset:872
	s_waitcnt lgkmcnt(0)
	v_add_co_u32 v50, vcc_lo, v50, 1
	v_add_co_ci_u32_e64 v51, null, 0, v51, vcc_lo
	ds_write_b64 v0, v[50:51] offset:872
.LBB2_470:                              ;   in Loop: Header=BB2_447 Depth=3
	s_or_b32 exec_lo, exec_lo, s14
	v_mov_b32_e32 v51, v9
	v_mov_b32_e32 v50, v8
.LBB2_471:                              ;   in Loop: Header=BB2_447 Depth=3
	s_or_b32 exec_lo, exec_lo, s15
	s_and_saveexec_b32 s14, s5
	s_cbranch_execz .LBB2_490
; %bb.472:                              ;   in Loop: Header=BB2_447 Depth=3
	s_and_saveexec_b32 s15, s24
	s_xor_b32 s15, exec_lo, s15
	s_cbranch_execz .LBB2_487
; %bb.473:                              ;   in Loop: Header=BB2_447 Depth=3
	s_and_saveexec_b32 s45, s7
	s_cbranch_execz .LBB2_486
; %bb.474:                              ;   in Loop: Header=BB2_447 Depth=3
	s_mov_b32 s47, exec_lo
	s_mov_b32 s46, exec_lo
	v_mbcnt_lo_u32_b32 v8, s47, 0
	s_waitcnt vmcnt(0) lgkmcnt(0)
	s_waitcnt_vscnt null, 0x0
	buffer_gl1_inv
	buffer_gl0_inv
	v_cmpx_eq_u32_e32 0, v8
	s_cbranch_execz .LBB2_476
; %bb.475:                              ;   in Loop: Header=BB2_447 Depth=3
	s_bcnt1_i32_b32 s47, s47
	v_mov_b32_e32 v9, v26
	v_mov_b32_e32 v8, s47
	ds_add_u64 v0, v[8:9]
	s_trap 2
.LBB2_476:                              ;   in Loop: Header=BB2_447 Depth=3
	s_or_b32 exec_lo, exec_lo, s46
	s_trap 2
	ds_read_b64 v[8:9], v0
	s_waitcnt lgkmcnt(0)
	buffer_gl0_inv
	v_add_co_u32 v10, vcc_lo, v10, v98
	v_add_co_ci_u32_e64 v11, null, 0, v11, vcc_lo
	s_mov_b32 s46, exec_lo
	v_cmpx_lt_u64_e64 v[8:9], v[10:11]
	s_cbranch_execz .LBB2_485
; %bb.477:                              ;   in Loop: Header=BB2_447 Depth=3
	s_mov_b32 s47, 0
	s_mov_b32 s58, 0
                                        ; implicit-def: $sgpr56
                                        ; implicit-def: $sgpr57
	s_inst_prefetch 0x1
	s_branch .LBB2_479
	.p2align	6
.LBB2_478:                              ;   in Loop: Header=BB2_479 Depth=4
	s_or_b32 exec_lo, exec_lo, s60
	s_and_b32 s59, exec_lo, s61
	s_or_b32 s47, s59, s47
	s_andn2_b32 s56, s56, exec_lo
	s_and_b32 s59, s57, exec_lo
	s_or_b32 s56, s56, s59
	s_andn2_b32 exec_lo, exec_lo, s47
	s_cbranch_execz .LBB2_483
.LBB2_479:                              ;   Parent Loop BB2_53 Depth=1
                                        ;     Parent Loop BB2_89 Depth=2
                                        ;       Parent Loop BB2_447 Depth=3
                                        ; =>      This Inner Loop Header: Depth=4
	s_add_i32 s58, s58, 1
	s_cmpk_lg_i32 s58, 0x2710
	s_cselect_b32 s59, -1, 0
	s_and_b32 vcc_lo, exec_lo, s59
	s_cbranch_vccz .LBB2_481
; %bb.480:                              ;   in Loop: Header=BB2_479 Depth=4
	s_mov_b32 s61, -1
	s_or_b32 s57, s57, exec_lo
	s_and_saveexec_b32 s60, s59
	s_cbranch_execz .LBB2_478
	s_branch .LBB2_482
	.p2align	6
.LBB2_481:                              ;   in Loop: Header=BB2_479 Depth=4
	s_trap 2
	ds_read_b64 v[8:9], v0
	s_andn2_b32 s59, s59, exec_lo
	s_mov_b32 s58, 0
	s_waitcnt lgkmcnt(0)
	flat_load_dword v8, v[8:9] glc dlc
	s_waitcnt vmcnt(0) lgkmcnt(0)
	buffer_gl1_inv
	buffer_gl0_inv
	v_cmp_eq_u32_e32 vcc_lo, 0, v8
	s_and_b32 s60, vcc_lo, exec_lo
	s_or_b32 s59, s59, s60
	s_mov_b32 s61, -1
	s_or_b32 s57, s57, exec_lo
	s_and_saveexec_b32 s60, s59
	s_cbranch_execz .LBB2_478
.LBB2_482:                              ;   in Loop: Header=BB2_479 Depth=4
	s_sleep 1
	s_trap 2
	ds_read_b64 v[8:9], v0
	s_waitcnt lgkmcnt(0)
	buffer_gl0_inv
	s_andn2_b32 s57, s57, exec_lo
	v_cmp_ge_u64_e32 vcc_lo, v[8:9], v[10:11]
	s_orn2_b32 s61, vcc_lo, exec_lo
	s_branch .LBB2_478
.LBB2_483:                              ;   in Loop: Header=BB2_447 Depth=3
	s_inst_prefetch 0x2
	s_or_b32 exec_lo, exec_lo, s47
	s_and_saveexec_b32 s47, s56
	s_xor_b32 s47, exec_lo, s47
	s_cbranch_execz .LBB2_485
; %bb.484:                              ;   in Loop: Header=BB2_447 Depth=3
	ds_write_b32 v0, v115
	s_trap 2
.LBB2_485:                              ;   in Loop: Header=BB2_447 Depth=3
	s_or_b32 exec_lo, exec_lo, s46
	;;#ASMSTART
	s_wakeup
	;;#ASMEND
.LBB2_486:                              ;   in Loop: Header=BB2_447 Depth=3
	s_or_b32 exec_lo, exec_lo, s45
.LBB2_487:                              ;   in Loop: Header=BB2_447 Depth=3
	s_andn2_saveexec_b32 s15, s15
	s_cbranch_execz .LBB2_489
; %bb.488:                              ;   in Loop: Header=BB2_447 Depth=3
	s_waitcnt vmcnt(0) lgkmcnt(0)
	s_waitcnt_vscnt null, 0x0
	buffer_gl1_inv
	buffer_gl0_inv
	s_barrier
.LBB2_489:                              ;   in Loop: Header=BB2_447 Depth=3
	s_or_b32 exec_lo, exec_lo, s15
.LBB2_490:                              ;   in Loop: Header=BB2_447 Depth=3
	s_or_b32 exec_lo, exec_lo, s14
	s_trap 2
	ds_read_b32 v64, v0
	v_and_b32_e32 v8, 0x4000, v96
	s_xor_b32 s14, s10, -1
	v_cmp_ne_u32_e32 vcc_lo, 0, v8
	s_and_b32 s15, s14, vcc_lo
	s_and_saveexec_b32 s14, s15
	s_cbranch_execz .LBB2_509
; %bb.491:                              ;   in Loop: Header=BB2_447 Depth=3
	s_and_saveexec_b32 s15, s24
	s_xor_b32 s15, exec_lo, s15
	s_cbranch_execz .LBB2_506
; %bb.492:                              ;   in Loop: Header=BB2_447 Depth=3
	s_and_saveexec_b32 s45, s7
	s_cbranch_execz .LBB2_505
; %bb.493:                              ;   in Loop: Header=BB2_447 Depth=3
	s_mov_b32 s47, exec_lo
	s_mov_b32 s46, exec_lo
	v_mbcnt_lo_u32_b32 v8, s47, 0
	s_waitcnt vmcnt(0) lgkmcnt(0)
	s_waitcnt_vscnt null, 0x0
	buffer_gl1_inv
	buffer_gl0_inv
	v_cmpx_eq_u32_e32 0, v8
	s_cbranch_execz .LBB2_495
; %bb.494:                              ;   in Loop: Header=BB2_447 Depth=3
	s_bcnt1_i32_b32 s47, s47
	v_mov_b32_e32 v9, v26
	v_mov_b32_e32 v8, s47
	ds_add_u64 v0, v[8:9]
	s_trap 2
.LBB2_495:                              ;   in Loop: Header=BB2_447 Depth=3
	s_or_b32 exec_lo, exec_lo, s46
	s_trap 2
	ds_read_b64 v[8:9], v0
	s_waitcnt lgkmcnt(0)
	buffer_gl0_inv
	v_add_co_u32 v10, vcc_lo, v10, v98
	v_add_co_ci_u32_e64 v11, null, 0, v11, vcc_lo
	s_mov_b32 s46, exec_lo
	v_cmpx_lt_u64_e64 v[8:9], v[10:11]
	s_cbranch_execz .LBB2_504
; %bb.496:                              ;   in Loop: Header=BB2_447 Depth=3
	s_mov_b32 s47, 0
	s_mov_b32 s58, 0
                                        ; implicit-def: $sgpr56
                                        ; implicit-def: $sgpr57
	s_inst_prefetch 0x1
	s_branch .LBB2_498
	.p2align	6
.LBB2_497:                              ;   in Loop: Header=BB2_498 Depth=4
	s_or_b32 exec_lo, exec_lo, s60
	s_and_b32 s59, exec_lo, s61
	s_or_b32 s47, s59, s47
	s_andn2_b32 s56, s56, exec_lo
	s_and_b32 s59, s57, exec_lo
	s_or_b32 s56, s56, s59
	s_andn2_b32 exec_lo, exec_lo, s47
	s_cbranch_execz .LBB2_502
.LBB2_498:                              ;   Parent Loop BB2_53 Depth=1
                                        ;     Parent Loop BB2_89 Depth=2
                                        ;       Parent Loop BB2_447 Depth=3
                                        ; =>      This Inner Loop Header: Depth=4
	s_add_i32 s58, s58, 1
	s_cmpk_lg_i32 s58, 0x2710
	s_cselect_b32 s59, -1, 0
	s_and_b32 vcc_lo, exec_lo, s59
	s_cbranch_vccz .LBB2_500
; %bb.499:                              ;   in Loop: Header=BB2_498 Depth=4
	s_mov_b32 s61, -1
	s_or_b32 s57, s57, exec_lo
	s_and_saveexec_b32 s60, s59
	s_cbranch_execz .LBB2_497
	s_branch .LBB2_501
	.p2align	6
.LBB2_500:                              ;   in Loop: Header=BB2_498 Depth=4
	s_trap 2
	ds_read_b64 v[8:9], v0
	s_andn2_b32 s59, s59, exec_lo
	s_mov_b32 s58, 0
	s_waitcnt lgkmcnt(0)
	flat_load_dword v8, v[8:9] glc dlc
	s_waitcnt vmcnt(0) lgkmcnt(0)
	buffer_gl1_inv
	buffer_gl0_inv
	v_cmp_eq_u32_e32 vcc_lo, 0, v8
	s_and_b32 s60, vcc_lo, exec_lo
	s_or_b32 s59, s59, s60
	s_mov_b32 s61, -1
	s_or_b32 s57, s57, exec_lo
	s_and_saveexec_b32 s60, s59
	s_cbranch_execz .LBB2_497
.LBB2_501:                              ;   in Loop: Header=BB2_498 Depth=4
	s_sleep 1
	s_trap 2
	ds_read_b64 v[8:9], v0
	s_waitcnt lgkmcnt(0)
	buffer_gl0_inv
	s_andn2_b32 s57, s57, exec_lo
	v_cmp_ge_u64_e32 vcc_lo, v[8:9], v[10:11]
	s_orn2_b32 s61, vcc_lo, exec_lo
	s_branch .LBB2_497
.LBB2_502:                              ;   in Loop: Header=BB2_447 Depth=3
	s_inst_prefetch 0x2
	s_or_b32 exec_lo, exec_lo, s47
	s_and_saveexec_b32 s47, s56
	s_xor_b32 s47, exec_lo, s47
	s_cbranch_execz .LBB2_504
; %bb.503:                              ;   in Loop: Header=BB2_447 Depth=3
	ds_write_b32 v0, v115
	s_trap 2
.LBB2_504:                              ;   in Loop: Header=BB2_447 Depth=3
	s_or_b32 exec_lo, exec_lo, s46
	;;#ASMSTART
	s_wakeup
	;;#ASMEND
.LBB2_505:                              ;   in Loop: Header=BB2_447 Depth=3
	s_or_b32 exec_lo, exec_lo, s45
.LBB2_506:                              ;   in Loop: Header=BB2_447 Depth=3
	s_andn2_saveexec_b32 s15, s15
	s_cbranch_execz .LBB2_508
; %bb.507:                              ;   in Loop: Header=BB2_447 Depth=3
	s_waitcnt vmcnt(0) lgkmcnt(0)
	s_waitcnt_vscnt null, 0x0
	buffer_gl1_inv
	buffer_gl0_inv
	s_barrier
.LBB2_508:                              ;   in Loop: Header=BB2_447 Depth=3
	s_or_b32 exec_lo, exec_lo, s15
.LBB2_509:                              ;   in Loop: Header=BB2_447 Depth=3
	s_or_b32 exec_lo, exec_lo, s14
	s_trap 2
	ds_read_b64 v[8:9], v0
	v_sub_nc_u32_e32 v54, v27, v67
	v_min_i32_e32 v66, v66, v54
	s_waitcnt lgkmcnt(0)
	v_cmp_eq_u64_e32 vcc_lo, 0, v[8:9]
	s_cbranch_vccnz .LBB2_517
; %bb.510:                              ;   in Loop: Header=BB2_447 Depth=3
	s_trap 2
	ds_read_b64 v[54:55], v0
	s_waitcnt lgkmcnt(0)
	v_cmp_eq_u64_e32 vcc_lo, 0, v[54:55]
	s_cbranch_vccnz .LBB2_517
; %bb.511:                              ;   in Loop: Header=BB2_447 Depth=3
	s_mov_b32 s14, -1
	s_and_saveexec_b32 s15, s11
	s_cbranch_execz .LBB2_513
; %bb.512:                              ;   in Loop: Header=BB2_447 Depth=3
	ds_read_b32 v65, v0 offset:720
	s_waitcnt lgkmcnt(0)
	v_and_b32_e32 v65, 15, v65
	v_cmp_eq_u32_e32 vcc_lo, 0, v65
	s_orn2_b32 s14, vcc_lo, exec_lo
.LBB2_513:                              ;   in Loop: Header=BB2_447 Depth=3
	s_or_b32 exec_lo, exec_lo, s15
	s_and_saveexec_b32 s15, s6
	s_cbranch_execz .LBB2_515
; %bb.514:                              ;   in Loop: Header=BB2_447 Depth=3
	ds_read_b32 v65, v0 offset:784
	s_waitcnt lgkmcnt(0)
	v_and_b32_e32 v65, 15, v65
	v_cmp_eq_u32_e32 vcc_lo, 0, v65
	s_and_b32 s45, s14, vcc_lo
	s_andn2_b32 s14, s14, exec_lo
	s_and_b32 s45, s45, exec_lo
	s_or_b32 s14, s14, s45
.LBB2_515:                              ;   in Loop: Header=BB2_447 Depth=3
	s_or_b32 exec_lo, exec_lo, s15
	v_cmp_eq_u32_e32 vcc_lo, 0, v64
	s_xor_b32 s14, s14, -1
	v_mov_b32_e32 v64, 0
	v_cndmask_b32_e64 v65, 0, 1, s14
	v_mov_b32_e32 v71, v0
	v_cndmask_b32_e32 v70, 0, v66, vcc_lo
	v_mov_b32_e32 v85, v28
	s_mov_b32 s14, -1
	v_cmp_ne_u32_e32 vcc_lo, 0, v65
	v_mov_b32_e32 v65, v70
	s_cbranch_vccz .LBB2_518
; %bb.516:                              ;   in Loop: Header=BB2_447 Depth=3
	s_and_saveexec_b32 s15, s14
	s_cbranch_execnz .LBB2_531
	s_branch .LBB2_539
.LBB2_517:                              ;   in Loop: Header=BB2_447 Depth=3
	s_mov_b32 s14, 0
	s_and_saveexec_b32 s15, s5
	s_cbranch_execnz .LBB2_540
	s_branch .LBB2_558
.LBB2_518:                              ;   in Loop: Header=BB2_447 Depth=3
	v_ashrrev_i32_e32 v64, 31, v70
	s_mov_b32 s15, exec_lo
	v_lshrrev_b32_e32 v64, 22, v64
	v_add_nc_u32_e32 v64, v70, v64
	v_ashrrev_i32_e32 v71, 10, v64
	v_sub_nc_u32_e32 v81, v71, v28
	v_cmpx_lt_i32_e32 0, v81
	s_cbranch_execz .LBB2_522
; %bb.519:                              ;   in Loop: Header=BB2_447 Depth=3
	v_mov_b32_e32 v65, v35
	v_mov_b32_e32 v64, v34
	s_mov_b32 s45, 0
	.p2align	6
.LBB2_520:                              ;   Parent Loop BB2_53 Depth=1
                                        ;     Parent Loop BB2_89 Depth=2
                                        ;       Parent Loop BB2_447 Depth=3
                                        ; =>      This Inner Loop Header: Depth=4
	v_add_co_u32 v41, vcc_lo, v8, v64
	v_add_co_ci_u32_e64 v42, null, v9, v65, vcc_lo
	v_sub_nc_u32_e32 v81, v81, v98
	v_add_co_u32 v45, vcc_lo, v54, v64
	s_clause 0x1
	global_load_dwordx4 v[82:85], v[41:42], off slc
	global_load_dwordx4 v[41:44], v[41:42], off offset:512 slc
	v_add_co_ci_u32_e64 v46, null, v55, v65, vcc_lo
	v_cmp_gt_i32_e32 vcc_lo, 1, v81
	v_add_co_u32 v64, s14, v64, v99
	v_add_co_ci_u32_e64 v65, null, 0, v65, s14
	s_or_b32 s45, vcc_lo, s45
	s_waitcnt vmcnt(1)
	global_store_dwordx4 v[45:46], v[82:85], off glc slc
	s_waitcnt vmcnt(0)
	global_store_dwordx4 v[45:46], v[41:44], off offset:512 glc slc
	s_andn2_b32 exec_lo, exec_lo, s45
	s_cbranch_execnz .LBB2_520
; %bb.521:                              ;   in Loop: Header=BB2_447 Depth=3
	s_or_b32 exec_lo, exec_lo, s45
.LBB2_522:                              ;   in Loop: Header=BB2_447 Depth=3
	s_or_b32 exec_lo, exec_lo, s15
	v_lshlrev_b32_e32 v80, 10, v71
	v_mov_b32_e32 v64, 0
	s_mov_b32 s14, 0
	s_mov_b32 s45, exec_lo
                                        ; implicit-def: $vgpr65
                                        ; implicit-def: $vgpr71
                                        ; implicit-def: $vgpr85
	v_cmpx_ne_u32_e64 v70, v80
	s_cbranch_execz .LBB2_530
; %bb.523:                              ;   in Loop: Header=BB2_447 Depth=3
	v_lshlrev_b32_e32 v64, 5, v81
	v_sub_nc_u32_e32 v71, v70, v80
	s_mov_b32 s46, exec_lo
	v_sub_nc_u32_e32 v64, v100, v64
	v_ashrrev_i32_e32 v81, 31, v71
	v_ashrrev_i32_e32 v65, 31, v64
	v_lshrrev_b32_e32 v81, 23, v81
	v_lshrrev_b32_e32 v65, 27, v65
	v_add_nc_u32_e32 v84, v71, v81
	v_add_nc_u32_e32 v65, v64, v65
	v_and_b32_e32 v81, 0xfffffe00, v84
	v_ashrrev_i32_e32 v84, 9, v84
	v_and_b32_e32 v82, 0xffffffe0, v65
	v_sub_nc_u32_e32 v83, v71, v81
	v_ashrrev_i32_e32 v85, 5, v65
	v_sub_nc_u32_e32 v82, v64, v82
	v_cmp_lt_i32_e32 vcc_lo, 15, v83
	v_lshlrev_b32_e32 v64, 4, v82
	v_add_co_ci_u32_e64 v84, null, 0, v84, vcc_lo
	v_lshl_add_u32 v65, v85, 9, v64
	v_sub_nc_u32_e32 v84, v84, v85
	v_sub_nc_u32_e32 v64, v71, v65
	v_cmpx_lt_i32_e32 15, v64
	s_cbranch_execz .LBB2_527
; %bb.524:                              ;   in Loop: Header=BB2_447 Depth=3
	v_add_nc_u32_e32 v65, v65, v80
	s_mov_b32 s47, 0
	v_ashrrev_i32_e32 v71, 31, v65
	.p2align	6
.LBB2_525:                              ;   Parent Loop BB2_53 Depth=1
                                        ;     Parent Loop BB2_89 Depth=2
                                        ;       Parent Loop BB2_447 Depth=3
                                        ; =>      This Inner Loop Header: Depth=4
	v_add_co_u32 v41, s14, v8, v65
	v_add_co_ci_u32_e64 v42, null, v9, v71, s14
	v_sub_nc_u32_e32 v64, v64, v101
	v_add_co_u32 v45, s14, v54, v65
	global_load_dwordx4 v[41:44], v[41:42], off slc
	v_add_co_ci_u32_e64 v46, null, v55, v71, s14
	v_cmp_gt_i32_e64 s14, 16, v64
	v_add_co_u32 v65, s15, v65, v101
	v_sub_nc_u32_e32 v84, v84, v98
	v_add_co_ci_u32_e64 v71, null, 0, v71, s15
	s_or_b32 s47, s14, s47
	s_waitcnt vmcnt(0)
	global_store_dwordx4 v[45:46], v[41:44], off glc slc
	s_andn2_b32 exec_lo, exec_lo, s47
	s_cbranch_execnz .LBB2_525
; %bb.526:                              ;   in Loop: Header=BB2_447 Depth=3
	s_or_b32 exec_lo, exec_lo, s47
.LBB2_527:                              ;   in Loop: Header=BB2_447 Depth=3
	s_or_b32 exec_lo, exec_lo, s46
	v_and_b32_e32 v41, 15, v70
	v_mov_b32_e32 v64, 0
	s_mov_b32 s15, 0
	s_mov_b32 s46, exec_lo
                                        ; implicit-def: $vgpr71
                                        ; implicit-def: $vgpr85
	v_cndmask_b32_e32 v65, v83, v41, vcc_lo
	v_cmpx_ne_u32_e32 0, v65
	s_cbranch_execz .LBB2_529
; %bb.528:                              ;   in Loop: Header=BB2_447 Depth=3
	v_cmp_lt_i32_e64 s14, 0, v84
	s_mov_b32 s15, exec_lo
	v_cndmask_b32_e64 v64, 0, v98, s14
	v_sub_nc_u32_e32 v64, v64, v84
	v_lshl_add_u32 v71, v64, 5, v82
	v_sub_nc_u32_e32 v82, v83, v41
	v_ashrrev_i32_e32 v64, 31, v71
	v_cndmask_b32_e32 v82, 0, v82, vcc_lo
	v_lshrrev_b32_e32 v64, 27, v64
	v_add_nc_u32_e32 v83, v71, v64
	v_add3_u32 v64, v81, v80, v82
	v_ashrrev_i32_e32 v85, 5, v83
.LBB2_529:                              ;   in Loop: Header=BB2_447 Depth=3
	s_or_b32 exec_lo, exec_lo, s46
	s_and_b32 s14, s15, exec_lo
.LBB2_530:                              ;   in Loop: Header=BB2_447 Depth=3
	s_or_b32 exec_lo, exec_lo, s45
	s_and_saveexec_b32 s15, s14
	s_cbranch_execz .LBB2_539
.LBB2_531:                              ;   in Loop: Header=BB2_447 Depth=3
	v_ashrrev_i32_e32 v80, 31, v65
	v_ashrrev_i32_e32 v81, 31, v71
	s_mov_b32 s14, exec_lo
	v_add_nc_u32_sdwa v80, v65, v80 dst_sel:DWORD dst_unused:UNUSED_PAD src0_sel:DWORD src1_sel:BYTE_3
	v_lshrrev_b32_e32 v81, 27, v81
	v_ashrrev_i32_e32 v82, 8, v80
	v_sub_nc_u32_e32 v80, v82, v85
	v_cmpx_lt_i32_e32 0, v80
	s_cbranch_execz .LBB2_535
; %bb.532:                              ;   in Loop: Header=BB2_447 Depth=3
	v_add_nc_u32_e32 v83, v71, v81
	v_lshlrev_b32_e32 v84, 8, v85
	s_mov_b32 s45, 0
	v_and_b32_e32 v83, 0xffffffe0, v83
	v_sub_nc_u32_e32 v83, v71, v83
	v_add3_u32 v83, v64, v83, v84
	v_ashrrev_i32_e32 v84, 31, v83
.LBB2_533:                              ;   Parent Loop BB2_53 Depth=1
                                        ;     Parent Loop BB2_89 Depth=2
                                        ;       Parent Loop BB2_447 Depth=3
                                        ; =>      This Inner Loop Header: Depth=4
	v_add_co_u32 v41, vcc_lo, v83, v8
	v_add_co_ci_u32_e64 v42, null, v84, v9, vcc_lo
	v_sub_nc_u32_e32 v80, v80, v98
	s_clause 0x7
	flat_load_ubyte v85, v[41:42] slc
	flat_load_ubyte v43, v[41:42] offset:32 slc
	flat_load_ubyte v44, v[41:42] offset:64 slc
	;; [unrolled: 1-line block ×7, first 2 shown]
	v_add_co_u32 v41, vcc_lo, v83, v54
	v_add_co_ci_u32_e64 v42, null, v84, v55, vcc_lo
	v_add_co_u32 v8, vcc_lo, v8, v102
	v_add_co_ci_u32_e64 v9, null, 0, v9, vcc_lo
	;; [unrolled: 2-line block ×3, first 2 shown]
	v_cmp_gt_i32_e32 vcc_lo, 1, v80
	s_waitcnt vmcnt(7) lgkmcnt(7)
	flat_store_byte v[41:42], v85 glc slc
	s_waitcnt vmcnt(6) lgkmcnt(7)
	flat_store_byte v[41:42], v43 offset:32 glc slc
	s_waitcnt vmcnt(5) lgkmcnt(7)
	flat_store_byte v[41:42], v44 offset:64 glc slc
	;; [unrolled: 2-line block ×7, first 2 shown]
	s_or_b32 s45, vcc_lo, s45
	s_andn2_b32 exec_lo, exec_lo, s45
	s_cbranch_execnz .LBB2_533
; %bb.534:                              ;   in Loop: Header=BB2_447 Depth=3
	s_or_b32 exec_lo, exec_lo, s45
.LBB2_535:                              ;   in Loop: Header=BB2_447 Depth=3
	s_or_b32 exec_lo, exec_lo, s14
	v_lshlrev_b32_e32 v8, 8, v82
	v_cmp_ne_u32_e32 vcc_lo, v65, v8
	s_and_b32 exec_lo, exec_lo, vcc_lo
	s_cbranch_execz .LBB2_539
; %bb.536:                              ;   in Loop: Header=BB2_447 Depth=3
	v_add_nc_u32_e32 v9, v71, v81
	v_lshlrev_b32_e32 v54, 5, v80
	v_and_b32_e32 v9, 0xffffffe0, v9
	v_sub_nc_u32_e32 v9, v71, v9
	v_sub_nc_u32_e32 v9, v9, v54
	v_add_nc_u32_e32 v55, v8, v9
	v_sub_nc_u32_e32 v54, v65, v55
	v_cmp_lt_i32_e32 vcc_lo, 0, v54
	s_and_b32 exec_lo, exec_lo, vcc_lo
	s_cbranch_execz .LBB2_539
; %bb.537:                              ;   in Loop: Header=BB2_447 Depth=3
	s_trap 2
	ds_read_b64 v[8:9], v0
	v_add_nc_u32_e32 v55, v55, v64
	s_mov_b32 s45, 0
	v_ashrrev_i32_e32 v64, 31, v55
	.p2align	6
.LBB2_538:                              ;   Parent Loop BB2_53 Depth=1
                                        ;     Parent Loop BB2_89 Depth=2
                                        ;       Parent Loop BB2_447 Depth=3
                                        ; =>      This Inner Loop Header: Depth=4
	s_waitcnt lgkmcnt(0)
	v_add_co_u32 v80, vcc_lo, v8, v55
	v_add_co_ci_u32_e64 v81, null, v9, v64, vcc_lo
	v_sub_nc_u32_e32 v54, v54, v103
	v_add_co_u32 v55, s14, v55, v103
	flat_load_ubyte v65, v[80:81] slc
	v_add_co_ci_u32_e64 v64, null, 0, v64, s14
	v_cmp_gt_i32_e32 vcc_lo, 1, v54
	s_or_b32 s45, vcc_lo, s45
	s_waitcnt vmcnt(0) lgkmcnt(0)
	flat_store_byte v[80:81], v65 glc slc
	s_andn2_b32 exec_lo, exec_lo, s45
	s_cbranch_execnz .LBB2_538
.LBB2_539:                              ;   in Loop: Header=BB2_447 Depth=3
	s_or_b32 exec_lo, exec_lo, s15
	v_cmp_lt_i32_e64 s14, 0, v70
	s_and_saveexec_b32 s15, s5
	s_cbranch_execz .LBB2_558
.LBB2_540:                              ;   in Loop: Header=BB2_447 Depth=3
	s_and_saveexec_b32 s45, s24
	s_xor_b32 s45, exec_lo, s45
	s_cbranch_execz .LBB2_555
; %bb.541:                              ;   in Loop: Header=BB2_447 Depth=3
	s_and_saveexec_b32 s46, s7
	s_cbranch_execz .LBB2_554
; %bb.542:                              ;   in Loop: Header=BB2_447 Depth=3
	s_mov_b32 s56, exec_lo
	s_mov_b32 s47, exec_lo
	v_mbcnt_lo_u32_b32 v8, s56, 0
	s_waitcnt vmcnt(0) lgkmcnt(0)
	s_waitcnt_vscnt null, 0x0
	buffer_gl1_inv
	buffer_gl0_inv
	v_cmpx_eq_u32_e32 0, v8
	s_cbranch_execz .LBB2_544
; %bb.543:                              ;   in Loop: Header=BB2_447 Depth=3
	s_bcnt1_i32_b32 s56, s56
	v_mov_b32_e32 v9, v26
	v_mov_b32_e32 v8, s56
	ds_add_u64 v0, v[8:9]
	s_trap 2
.LBB2_544:                              ;   in Loop: Header=BB2_447 Depth=3
	s_or_b32 exec_lo, exec_lo, s47
	s_trap 2
	ds_read_b64 v[8:9], v0
	s_waitcnt lgkmcnt(0)
	buffer_gl0_inv
	v_add_co_u32 v10, vcc_lo, v10, v98
	v_add_co_ci_u32_e64 v11, null, 0, v11, vcc_lo
	s_mov_b32 s47, exec_lo
	v_cmpx_lt_u64_e64 v[8:9], v[10:11]
	s_cbranch_execz .LBB2_553
; %bb.545:                              ;   in Loop: Header=BB2_447 Depth=3
	s_mov_b32 s56, 0
	s_mov_b32 s59, 0
                                        ; implicit-def: $sgpr57
                                        ; implicit-def: $sgpr58
	s_inst_prefetch 0x1
	s_branch .LBB2_547
	.p2align	6
.LBB2_546:                              ;   in Loop: Header=BB2_547 Depth=4
	s_or_b32 exec_lo, exec_lo, s61
	s_and_b32 s60, exec_lo, s62
	s_or_b32 s56, s60, s56
	s_andn2_b32 s57, s57, exec_lo
	s_and_b32 s60, s58, exec_lo
	s_or_b32 s57, s57, s60
	s_andn2_b32 exec_lo, exec_lo, s56
	s_cbranch_execz .LBB2_551
.LBB2_547:                              ;   Parent Loop BB2_53 Depth=1
                                        ;     Parent Loop BB2_89 Depth=2
                                        ;       Parent Loop BB2_447 Depth=3
                                        ; =>      This Inner Loop Header: Depth=4
	s_add_i32 s59, s59, 1
	s_cmpk_lg_i32 s59, 0x2710
	s_cselect_b32 s60, -1, 0
	s_and_b32 vcc_lo, exec_lo, s60
	s_cbranch_vccz .LBB2_549
; %bb.548:                              ;   in Loop: Header=BB2_547 Depth=4
	s_mov_b32 s62, -1
	s_or_b32 s58, s58, exec_lo
	s_and_saveexec_b32 s61, s60
	s_cbranch_execz .LBB2_546
	s_branch .LBB2_550
	.p2align	6
.LBB2_549:                              ;   in Loop: Header=BB2_547 Depth=4
	s_trap 2
	ds_read_b64 v[8:9], v0
	s_andn2_b32 s60, s60, exec_lo
	s_mov_b32 s59, 0
	s_waitcnt lgkmcnt(0)
	flat_load_dword v8, v[8:9] glc dlc
	s_waitcnt vmcnt(0) lgkmcnt(0)
	buffer_gl1_inv
	buffer_gl0_inv
	v_cmp_eq_u32_e32 vcc_lo, 0, v8
	s_and_b32 s61, vcc_lo, exec_lo
	s_or_b32 s60, s60, s61
	s_mov_b32 s62, -1
	s_or_b32 s58, s58, exec_lo
	s_and_saveexec_b32 s61, s60
	s_cbranch_execz .LBB2_546
.LBB2_550:                              ;   in Loop: Header=BB2_547 Depth=4
	s_sleep 1
	s_trap 2
	ds_read_b64 v[8:9], v0
	s_waitcnt lgkmcnt(0)
	buffer_gl0_inv
	s_andn2_b32 s58, s58, exec_lo
	v_cmp_ge_u64_e32 vcc_lo, v[8:9], v[10:11]
	s_orn2_b32 s62, vcc_lo, exec_lo
	s_branch .LBB2_546
.LBB2_551:                              ;   in Loop: Header=BB2_447 Depth=3
	s_inst_prefetch 0x2
	s_or_b32 exec_lo, exec_lo, s56
	s_and_saveexec_b32 s56, s57
	s_xor_b32 s56, exec_lo, s56
	s_cbranch_execz .LBB2_553
; %bb.552:                              ;   in Loop: Header=BB2_447 Depth=3
	ds_write_b32 v0, v115
	s_trap 2
.LBB2_553:                              ;   in Loop: Header=BB2_447 Depth=3
	s_or_b32 exec_lo, exec_lo, s47
	;;#ASMSTART
	s_wakeup
	;;#ASMEND
.LBB2_554:                              ;   in Loop: Header=BB2_447 Depth=3
	s_or_b32 exec_lo, exec_lo, s46
.LBB2_555:                              ;   in Loop: Header=BB2_447 Depth=3
	s_andn2_saveexec_b32 s45, s45
	s_cbranch_execz .LBB2_557
; %bb.556:                              ;   in Loop: Header=BB2_447 Depth=3
	s_waitcnt vmcnt(0) lgkmcnt(0)
	s_waitcnt_vscnt null, 0x0
	buffer_gl1_inv
	buffer_gl0_inv
	s_barrier
.LBB2_557:                              ;   in Loop: Header=BB2_447 Depth=3
	s_or_b32 exec_lo, exec_lo, s45
.LBB2_558:                              ;   in Loop: Header=BB2_447 Depth=3
	s_or_b32 exec_lo, exec_lo, s15
	v_and_b32_e32 v8, 16, v96
	v_cmp_ne_u32_e32 vcc_lo, 0, v8
	s_and_b32 s15, vcc_lo, s14
	s_and_saveexec_b32 s14, s15
	s_cbranch_execz .LBB2_560
; %bb.559:                              ;   in Loop: Header=BB2_447 Depth=3
	s_waitcnt vmcnt(0) lgkmcnt(0)
	s_waitcnt_vscnt null, 0x0
	buffer_gl1_inv
	buffer_gl0_inv
.LBB2_560:                              ;   in Loop: Header=BB2_447 Depth=3
	s_or_b32 exec_lo, exec_lo, s14
	v_and_b32_e32 v8, 32, v96
	s_mov_b32 s14, exec_lo
	v_cmpx_ne_u32_e32 0, v8
	s_cbranch_execz .LBB2_446
; %bb.561:                              ;   in Loop: Header=BB2_447 Depth=3
	v_add_co_u32 v50, vcc_lo, v50, 2
	v_add_co_ci_u32_e64 v51, null, 0, v51, vcc_lo
	s_waitcnt vmcnt(0) lgkmcnt(0)
	s_waitcnt_vscnt null, 0x0
	flat_store_dwordx2 v[16:17], v[50:51]
	s_branch .LBB2_446
.LBB2_562:                              ;   in Loop: Header=BB2_89 Depth=2
	s_or_b32 exec_lo, exec_lo, s42
.LBB2_563:                              ;   in Loop: Header=BB2_89 Depth=2
	s_or_b32 exec_lo, exec_lo, s41
	s_mov_b32 s15, exec_lo
	v_cmpx_gt_i32_e32 2, v8
	s_cbranch_execz .LBB2_88
; %bb.564:                              ;   in Loop: Header=BB2_89 Depth=2
	v_cmp_eq_u32_e64 s42, 0, v8
	s_mov_b32 s41, 0
	s_branch .LBB2_566
.LBB2_565:                              ;   in Loop: Header=BB2_566 Depth=3
	s_or_b32 exec_lo, exec_lo, s14
	v_add_nc_u32_e32 v67, v66, v67
	s_mov_b32 s42, 0
	s_andn2_b32 exec_lo, exec_lo, s41
	s_cbranch_execz .LBB2_87
.LBB2_566:                              ;   Parent Loop BB2_53 Depth=1
                                        ;     Parent Loop BB2_89 Depth=2
                                        ; =>    This Loop Header: Depth=3
                                        ;         Child Loop BB2_572 Depth 4
                                        ;         Child Loop BB2_596 Depth 4
	v_and_b32_e32 v8, 4, v96
	s_mov_b32 s43, exec_lo
	v_cmpx_ne_u32_e32 0, v8
	s_cbranch_execz .LBB2_588
; %bb.567:                              ;   in Loop: Header=BB2_566 Depth=3
	v_add_co_u32 v8, vcc_lo, v50, 2
	v_add_co_ci_u32_e64 v9, null, 0, v51, vcc_lo
	s_mov_b32 s44, exec_lo
	s_waitcnt vmcnt(0)
	v_cmpx_lt_u64_e64 v[22:23], v[8:9]
	s_cbranch_execz .LBB2_579
; %bb.568:                              ;   in Loop: Header=BB2_566 Depth=3
	v_and_b32_e32 v22, 64, v96
	s_mov_b32 s45, 0
	s_mov_b32 s57, 0
                                        ; implicit-def: $sgpr46
                                        ; implicit-def: $sgpr47
                                        ; implicit-def: $sgpr56
	v_cmp_eq_u32_e32 vcc_lo, 0, v22
	s_branch .LBB2_572
.LBB2_569:                              ;   in Loop: Header=BB2_572 Depth=4
	s_waitcnt vmcnt(0) lgkmcnt(0)
	v_cmp_ge_u64_e64 s14, v[22:23], v[8:9]
	s_or_b32 s60, s60, exec_lo
	s_orn2_b32 s59, s14, exec_lo
.LBB2_570:                              ;   in Loop: Header=BB2_572 Depth=4
	s_or_b32 exec_lo, exec_lo, s62
	s_andn2_b32 s14, s56, exec_lo
	s_and_b32 s56, s60, exec_lo
	s_andn2_b32 s47, s47, exec_lo
	s_and_b32 s59, s59, exec_lo
	s_or_b32 s56, s14, s56
	s_or_b32 s47, s47, s59
.LBB2_571:                              ;   in Loop: Header=BB2_572 Depth=4
	s_or_b32 exec_lo, exec_lo, s58
	s_and_b32 s14, exec_lo, s47
	s_or_b32 s45, s14, s45
	s_andn2_b32 s14, s46, exec_lo
	s_and_b32 s46, s56, exec_lo
	s_or_b32 s46, s14, s46
	s_andn2_b32 exec_lo, exec_lo, s45
	s_cbranch_execz .LBB2_576
.LBB2_572:                              ;   Parent Loop BB2_53 Depth=1
                                        ;     Parent Loop BB2_89 Depth=2
                                        ;       Parent Loop BB2_566 Depth=3
                                        ; =>      This Inner Loop Header: Depth=4
	s_sleep 1
	s_waitcnt vmcnt(0) lgkmcnt(0)
	flat_load_dwordx2 v[22:23], v[16:17] glc dlc
	s_or_b32 s56, s56, exec_lo
	s_or_b32 s47, s47, exec_lo
                                        ; implicit-def: $vgpr51
	s_and_saveexec_b32 s58, vcc_lo
	s_cbranch_execz .LBB2_571
; %bb.573:                              ;   in Loop: Header=BB2_572 Depth=4
	s_cmpk_lt_i32 s57, 0x270f
	s_mov_b32 s59, -1
	s_cselect_b32 s61, -1, 0
	s_cmpk_gt_i32 s57, 0x270e
	s_cbranch_scc0 .LBB2_575
; %bb.574:                              ;   in Loop: Header=BB2_572 Depth=4
	s_trap 2
	ds_read_b64 v[54:55], v0
	s_andn2_b32 s57, s61, exec_lo
	s_mov_b32 s60, 0
	s_waitcnt vmcnt(0) lgkmcnt(0)
	s_waitcnt_vscnt null, 0x0
	flat_load_dword v51, v[54:55] glc dlc
	s_waitcnt vmcnt(0) lgkmcnt(0)
	buffer_gl1_inv
	buffer_gl0_inv
	v_cmp_eq_u32_e64 s14, 0, v51
	s_and_b32 s14, s14, exec_lo
	s_or_b32 s61, s57, s14
	s_mov_b32 s57, 0
	s_and_saveexec_b32 s62, s61
	s_cbranch_execz .LBB2_570
	s_branch .LBB2_569
.LBB2_575:                              ;   in Loop: Header=BB2_572 Depth=4
	s_add_i32 s57, s57, 1
	s_mov_b32 s60, -1
                                        ; implicit-def: $vgpr51
	s_and_saveexec_b32 s62, s61
	s_cbranch_execz .LBB2_570
	s_branch .LBB2_569
.LBB2_576:                              ;   in Loop: Header=BB2_566 Depth=3
	s_or_b32 exec_lo, exec_lo, s45
	s_xor_b32 s14, s46, -1
	s_and_saveexec_b32 s45, s14
	s_xor_b32 s14, exec_lo, s45
	s_cbranch_execz .LBB2_578
; %bb.577:                              ;   in Loop: Header=BB2_566 Depth=3
	v_or_b32_e32 v96, 64, v96
	s_waitcnt vmcnt(0) lgkmcnt(0)
	s_waitcnt_vscnt null, 0x0
	ds_write_b32 v0, v51
	s_trap 2
.LBB2_578:                              ;   in Loop: Header=BB2_566 Depth=3
	s_or_b32 exec_lo, exec_lo, s14
.LBB2_579:                              ;   in Loop: Header=BB2_566 Depth=3
	s_or_b32 exec_lo, exec_lo, s44
	v_and_b32_e32 v51, 0x100, v96
	v_and_b32_e32 v64, 7, v50
	s_mov_b32 s14, -1
	;;#ASMSTART
	s_wakeup
	;;#ASMEND
	v_cmp_ne_u32_e32 vcc_lo, 0, v51
                                        ; implicit-def: $vgpr50_vgpr51
	s_and_saveexec_b32 s44, vcc_lo
	s_cbranch_execz .LBB2_583
; %bb.580:                              ;   in Loop: Header=BB2_566 Depth=3
	v_mad_u64_u32 v[54:55], null, v64, 24, v[4:5]
	flat_load_dword v50, v[54:55]
	s_waitcnt vmcnt(0) lgkmcnt(0)
	v_cmp_eq_u32_e64 s14, 1, v50
	v_cmp_ne_u32_e32 vcc_lo, 1, v50
                                        ; implicit-def: $vgpr50_vgpr51
	s_and_saveexec_b32 s45, s14
	s_cbranch_execz .LBB2_582
; %bb.581:                              ;   in Loop: Header=BB2_566 Depth=3
	flat_load_dword v50, v[54:55] offset:4 glc dlc
	s_waitcnt vmcnt(0) lgkmcnt(0)
	v_ashrrev_i32_e32 v51, 31, v50
.LBB2_582:                              ;   in Loop: Header=BB2_566 Depth=3
	s_or_b32 exec_lo, exec_lo, s45
	s_orn2_b32 s14, vcc_lo, exec_lo
.LBB2_583:                              ;   in Loop: Header=BB2_566 Depth=3
	s_or_b32 exec_lo, exec_lo, s44
	s_and_saveexec_b32 s44, s14
; %bb.584:                              ;   in Loop: Header=BB2_566 Depth=3
	v_mad_i64_i32 v[50:51], null, v64, v97, 0
; %bb.585:                              ;   in Loop: Header=BB2_566 Depth=3
	s_or_b32 exec_lo, exec_lo, s44
	v_add_co_u32 v50, vcc_lo, v18, v50
	v_and_b32_e32 v54, 0x2000, v96
	v_add_co_ci_u32_e64 v51, null, v19, v51, vcc_lo
	s_mov_b32 s14, exec_lo
	ds_write_b64 v0, v[50:51] offset:720
	v_cmpx_ne_u32_e32 0, v54
	s_cbranch_execz .LBB2_587
; %bb.586:                              ;   in Loop: Header=BB2_566 Depth=3
	ds_read_b64 v[50:51], v0 offset:872
	s_waitcnt lgkmcnt(0)
	v_add_co_u32 v50, vcc_lo, v50, 1
	v_add_co_ci_u32_e64 v51, null, 0, v51, vcc_lo
	ds_write_b64 v0, v[50:51] offset:872
.LBB2_587:                              ;   in Loop: Header=BB2_566 Depth=3
	s_or_b32 exec_lo, exec_lo, s14
	v_mov_b32_e32 v51, v9
	v_mov_b32_e32 v50, v8
.LBB2_588:                              ;   in Loop: Header=BB2_566 Depth=3
	s_or_b32 exec_lo, exec_lo, s43
	s_xor_b32 s14, s42, -1
	s_and_b32 s14, exec_lo, s14
	s_or_b32 s41, s14, s41
	s_and_saveexec_b32 s14, s5
	s_cbranch_execz .LBB2_607
; %bb.589:                              ;   in Loop: Header=BB2_566 Depth=3
	s_and_saveexec_b32 s42, s24
	s_xor_b32 s42, exec_lo, s42
	s_cbranch_execz .LBB2_604
; %bb.590:                              ;   in Loop: Header=BB2_566 Depth=3
	s_and_saveexec_b32 s43, s7
	s_cbranch_execz .LBB2_603
; %bb.591:                              ;   in Loop: Header=BB2_566 Depth=3
	s_mov_b32 s45, exec_lo
	s_mov_b32 s44, exec_lo
	v_mbcnt_lo_u32_b32 v8, s45, 0
	s_waitcnt vmcnt(0) lgkmcnt(0)
	s_waitcnt_vscnt null, 0x0
	buffer_gl1_inv
	buffer_gl0_inv
	v_cmpx_eq_u32_e32 0, v8
	s_cbranch_execz .LBB2_593
; %bb.592:                              ;   in Loop: Header=BB2_566 Depth=3
	s_bcnt1_i32_b32 s45, s45
	v_mov_b32_e32 v9, v26
	v_mov_b32_e32 v8, s45
	ds_add_u64 v0, v[8:9]
	s_trap 2
.LBB2_593:                              ;   in Loop: Header=BB2_566 Depth=3
	s_or_b32 exec_lo, exec_lo, s44
	s_trap 2
	ds_read_b64 v[8:9], v0
	s_waitcnt lgkmcnt(0)
	buffer_gl0_inv
	v_add_co_u32 v10, vcc_lo, v10, v98
	v_add_co_ci_u32_e64 v11, null, 0, v11, vcc_lo
	s_mov_b32 s44, exec_lo
	v_cmpx_lt_u64_e64 v[8:9], v[10:11]
	s_cbranch_execz .LBB2_602
; %bb.594:                              ;   in Loop: Header=BB2_566 Depth=3
	s_mov_b32 s45, 0
	s_mov_b32 s56, 0
                                        ; implicit-def: $sgpr46
                                        ; implicit-def: $sgpr47
	s_inst_prefetch 0x1
	s_branch .LBB2_596
	.p2align	6
.LBB2_595:                              ;   in Loop: Header=BB2_596 Depth=4
	s_or_b32 exec_lo, exec_lo, s58
	s_and_b32 s57, exec_lo, s59
	s_or_b32 s45, s57, s45
	s_andn2_b32 s46, s46, exec_lo
	s_and_b32 s57, s47, exec_lo
	s_or_b32 s46, s46, s57
	s_andn2_b32 exec_lo, exec_lo, s45
	s_cbranch_execz .LBB2_600
.LBB2_596:                              ;   Parent Loop BB2_53 Depth=1
                                        ;     Parent Loop BB2_89 Depth=2
                                        ;       Parent Loop BB2_566 Depth=3
                                        ; =>      This Inner Loop Header: Depth=4
	s_add_i32 s56, s56, 1
	s_cmpk_lg_i32 s56, 0x2710
	s_cselect_b32 s57, -1, 0
	s_and_b32 vcc_lo, exec_lo, s57
	s_cbranch_vccz .LBB2_598
; %bb.597:                              ;   in Loop: Header=BB2_596 Depth=4
	s_mov_b32 s59, -1
	s_or_b32 s47, s47, exec_lo
	s_and_saveexec_b32 s58, s57
	s_cbranch_execz .LBB2_595
	s_branch .LBB2_599
	.p2align	6
.LBB2_598:                              ;   in Loop: Header=BB2_596 Depth=4
	s_trap 2
	ds_read_b64 v[8:9], v0
	s_andn2_b32 s57, s57, exec_lo
	s_mov_b32 s56, 0
	s_waitcnt lgkmcnt(0)
	flat_load_dword v8, v[8:9] glc dlc
	s_waitcnt vmcnt(0) lgkmcnt(0)
	buffer_gl1_inv
	buffer_gl0_inv
	v_cmp_eq_u32_e32 vcc_lo, 0, v8
	s_and_b32 s58, vcc_lo, exec_lo
	s_or_b32 s57, s57, s58
	s_mov_b32 s59, -1
	s_or_b32 s47, s47, exec_lo
	s_and_saveexec_b32 s58, s57
	s_cbranch_execz .LBB2_595
.LBB2_599:                              ;   in Loop: Header=BB2_596 Depth=4
	s_sleep 1
	s_trap 2
	ds_read_b64 v[8:9], v0
	s_waitcnt lgkmcnt(0)
	buffer_gl0_inv
	s_andn2_b32 s47, s47, exec_lo
	v_cmp_ge_u64_e32 vcc_lo, v[8:9], v[10:11]
	s_orn2_b32 s59, vcc_lo, exec_lo
	s_branch .LBB2_595
.LBB2_600:                              ;   in Loop: Header=BB2_566 Depth=3
	s_inst_prefetch 0x2
	s_or_b32 exec_lo, exec_lo, s45
	s_and_saveexec_b32 s45, s46
	s_xor_b32 s45, exec_lo, s45
	s_cbranch_execz .LBB2_602
; %bb.601:                              ;   in Loop: Header=BB2_566 Depth=3
	ds_write_b32 v0, v115
	s_trap 2
.LBB2_602:                              ;   in Loop: Header=BB2_566 Depth=3
	s_or_b32 exec_lo, exec_lo, s44
	;;#ASMSTART
	s_wakeup
	;;#ASMEND
.LBB2_603:                              ;   in Loop: Header=BB2_566 Depth=3
	s_or_b32 exec_lo, exec_lo, s43
.LBB2_604:                              ;   in Loop: Header=BB2_566 Depth=3
	s_andn2_saveexec_b32 s42, s42
	s_cbranch_execz .LBB2_606
; %bb.605:                              ;   in Loop: Header=BB2_566 Depth=3
	s_waitcnt vmcnt(0) lgkmcnt(0)
	s_waitcnt_vscnt null, 0x0
	buffer_gl1_inv
	buffer_gl0_inv
	s_barrier
.LBB2_606:                              ;   in Loop: Header=BB2_566 Depth=3
	s_or_b32 exec_lo, exec_lo, s42
.LBB2_607:                              ;   in Loop: Header=BB2_566 Depth=3
	s_or_b32 exec_lo, exec_lo, s14
	s_trap 2
	ds_read_b32 v8, v0
	v_sub_nc_u32_e32 v9, v27, v67
	v_min_i32_e32 v66, v66, v9
	v_cmp_lt_i32_e32 vcc_lo, 0, v66
	s_waitcnt lgkmcnt(0)
	v_readfirstlane_b32 s14, v8
	v_and_b32_e32 v8, 16, v96
	s_cmp_eq_u32 s14, 0
	v_cmp_ne_u32_e64 s14, 0, v8
	s_cselect_b32 s42, -1, 0
	s_and_b32 s42, vcc_lo, s42
	s_and_b32 s42, s14, s42
	s_and_saveexec_b32 s14, s42
	s_cbranch_execz .LBB2_609
; %bb.608:                              ;   in Loop: Header=BB2_566 Depth=3
	s_waitcnt vmcnt(0)
	s_waitcnt_vscnt null, 0x0
	buffer_gl1_inv
	buffer_gl0_inv
.LBB2_609:                              ;   in Loop: Header=BB2_566 Depth=3
	s_or_b32 exec_lo, exec_lo, s14
	v_and_b32_e32 v8, 32, v96
	s_mov_b32 s14, exec_lo
	v_cmpx_ne_u32_e32 0, v8
	s_cbranch_execz .LBB2_565
; %bb.610:                              ;   in Loop: Header=BB2_566 Depth=3
	v_add_co_u32 v50, vcc_lo, v50, 2
	v_add_co_ci_u32_e64 v51, null, 0, v51, vcc_lo
	s_waitcnt vmcnt(0)
	s_waitcnt_vscnt null, 0x0
	flat_store_dwordx2 v[16:17], v[50:51]
	s_branch .LBB2_565
.LBB2_611:                              ;   in Loop: Header=BB2_53 Depth=1
	s_or_b32 exec_lo, exec_lo, s29
.LBB2_612:                              ;   in Loop: Header=BB2_53 Depth=1
	s_or_b32 exec_lo, exec_lo, s28
.LBB2_613:                              ;   in Loop: Header=BB2_53 Depth=1
	s_or_b32 exec_lo, exec_lo, s27
	s_add_i32 s14, s16, 1
	s_add_i32 s20, s20, 1
	s_cmp_eq_u32 s16, s22
	s_cbranch_scc1 .LBB2_615
; %bb.614:                              ;   in Loop: Header=BB2_53 Depth=1
	s_mov_b32 s16, s14
	s_branch .LBB2_53
.LBB2_615:
	v_and_b32_e32 v0, 0x800, v96
	s_mov_b32 s5, exec_lo
	v_cmpx_eq_u32_e32 0, v0
	s_cbranch_execz .LBB2_648
; %bb.616:
	v_and_b32_e32 v0, 48, v96
	s_mov_b32 s4, exec_lo
	v_cmpx_ne_u32_e32 0, v0
	s_cbranch_execz .LBB2_618
; %bb.617:
	flat_store_dwordx2 v[14:15], v[50:51] offset:104
.LBB2_618:
	s_or_b32 exec_lo, exec_lo, s4
	v_and_b32_e32 v0, 0x88, v96
	s_mov_b32 s6, exec_lo
	v_cmpx_eq_u32_e32 0x88, v0
	s_cbranch_execz .LBB2_628
; %bb.619:
	v_add_nc_u32_e32 v0, 6, v50
	s_mov_b32 s7, 0
	v_and_b32_e32 v0, 7, v0
	v_mad_u64_u32 v[2:3], null, v0, 24, v[4:5]
	v_and_b32_e32 v0, 64, v96
	v_cmp_eq_u32_e64 s4, 0, v0
	flat_load_dwordx2 v[4:5], v[2:3] offset:8 glc dlc
	s_waitcnt vmcnt(0) lgkmcnt(0)
	v_cmp_ne_u64_e32 vcc_lo, -1, v[4:5]
	s_and_b32 s4, vcc_lo, s4
	s_and_b32 exec_lo, exec_lo, s4
	s_cbranch_execz .LBB2_628
; %bb.620:
	s_mov_b32 s11, 0
                                        ; implicit-def: $sgpr4
                                        ; implicit-def: $sgpr10
	s_inst_prefetch 0x1
	s_branch .LBB2_623
	.p2align	6
.LBB2_621:                              ;   in Loop: Header=BB2_623 Depth=1
	flat_load_dwordx2 v[4:5], v[2:3] offset:8 glc dlc
	s_waitcnt vmcnt(0)
	s_andn2_b32 s10, s10, exec_lo
	s_waitcnt lgkmcnt(0)
	v_cmp_eq_u64_e32 vcc_lo, -1, v[4:5]
	s_orn2_b32 s13, vcc_lo, exec_lo
.LBB2_622:                              ;   in Loop: Header=BB2_623 Depth=1
	s_or_b32 exec_lo, exec_lo, s14
	s_and_b32 s12, exec_lo, s13
	s_or_b32 s7, s12, s7
	s_andn2_b32 s4, s4, exec_lo
	s_and_b32 s12, s10, exec_lo
	s_or_b32 s4, s4, s12
	s_andn2_b32 exec_lo, exec_lo, s7
	s_cbranch_execz .LBB2_626
.LBB2_623:                              ; =>This Inner Loop Header: Depth=1
	s_cmpk_lt_i32 s11, 0x270f
	s_cselect_b32 s12, -1, 0
	s_and_b32 vcc_lo, exec_lo, s12
	s_cbranch_vccnz .LBB2_625
; %bb.624:                              ;   in Loop: Header=BB2_623 Depth=1
	s_trap 2
	ds_read_b64 v[4:5], v0
	s_andn2_b32 s12, s12, exec_lo
	s_mov_b32 s11, 0
	s_waitcnt lgkmcnt(0)
	s_waitcnt_vscnt null, 0x0
	flat_load_dword v0, v[4:5] glc dlc
	s_waitcnt vmcnt(0) lgkmcnt(0)
	buffer_gl1_inv
	buffer_gl0_inv
	v_cmp_eq_u32_e32 vcc_lo, 0, v0
	s_and_b32 s13, vcc_lo, exec_lo
	s_or_b32 s12, s12, s13
	s_mov_b32 s13, -1
	s_or_b32 s10, s10, exec_lo
	s_and_saveexec_b32 s14, s12
	s_cbranch_execz .LBB2_622
	s_branch .LBB2_621
	.p2align	6
.LBB2_625:                              ;   in Loop: Header=BB2_623 Depth=1
	s_add_i32 s11, s11, 1
                                        ; implicit-def: $vgpr0
	s_mov_b32 s13, -1
	s_or_b32 s10, s10, exec_lo
	s_and_saveexec_b32 s14, s12
	s_cbranch_execz .LBB2_622
	s_branch .LBB2_621
.LBB2_626:
	s_inst_prefetch 0x2
	s_or_b32 exec_lo, exec_lo, s7
	s_and_saveexec_b32 s7, s4
	s_xor_b32 s7, exec_lo, s7
	s_cbranch_execz .LBB2_628
; %bb.627:
	s_waitcnt_vscnt null, 0x0
	ds_write_b32 v0, v0
	s_trap 2
.LBB2_628:
	s_or_b32 exec_lo, exec_lo, s6
	v_and_b32_e32 v0, 0x2000, v96
	s_mov_b32 s4, exec_lo
	v_cmpx_ne_u32_e32 0, v0
	s_cbranch_execz .LBB2_630
; %bb.629:
	s_trap 2
	ds_read_b64 v[2:3], v0
	s_waitcnt lgkmcnt(0)
	flat_store_dwordx2 v[12:13], v[2:3] offset:16
.LBB2_630:
	s_or_b32 exec_lo, exec_lo, s4
	v_cmp_ne_u32_e32 vcc_lo, 32, v1
	s_and_b32 exec_lo, exec_lo, vcc_lo
	s_cbranch_execz .LBB2_648
; %bb.631:
	s_waitcnt vmcnt(0)
	v_cmp_ne_u32_sdwa s4, v1, v87 src0_sel:DWORD src1_sel:WORD_0
	s_and_saveexec_b32 s6, s4
	s_xor_b32 s4, exec_lo, s6
	s_cbranch_execz .LBB2_646
; %bb.632:
	v_and_b32_e32 v0, 31, v31
	s_mov_b32 s6, exec_lo
	v_cmpx_eq_u32_e32 0, v0
	s_cbranch_execz .LBB2_645
; %bb.633:
	s_mov_b32 s10, exec_lo
	s_mov_b32 s7, exec_lo
	v_mbcnt_lo_u32_b32 v0, s10, 0
	s_waitcnt lgkmcnt(0)
	s_waitcnt_vscnt null, 0x0
	buffer_gl1_inv
	buffer_gl0_inv
	v_cmpx_eq_u32_e32 0, v0
	s_cbranch_execz .LBB2_635
; %bb.634:
	s_bcnt1_i32_b32 s10, s10
	v_mov_b32_e32 v3, 0
	v_mov_b32_e32 v2, s10
	ds_add_u64 v0, v[2:3]
	s_trap 2
.LBB2_635:
	s_or_b32 exec_lo, exec_lo, s7
	s_trap 2
	ds_read_b64 v[2:3], v0
	s_waitcnt lgkmcnt(0)
	buffer_gl0_inv
	v_lshrrev_b32_e32 v0, 5, v1
	s_mov_b32 s7, exec_lo
	v_add_co_u32 v0, vcc_lo, v10, v0
	v_add_co_ci_u32_e64 v1, null, 0, v11, vcc_lo
	v_cmpx_lt_u64_e64 v[2:3], v[0:1]
	s_cbranch_execz .LBB2_644
; %bb.636:
	s_mov_b32 s10, 0
	s_mov_b32 s13, 0
                                        ; implicit-def: $sgpr11
                                        ; implicit-def: $sgpr12
	s_inst_prefetch 0x1
	s_branch .LBB2_638
	.p2align	6
.LBB2_637:                              ;   in Loop: Header=BB2_638 Depth=1
	s_or_b32 exec_lo, exec_lo, s15
	s_and_b32 s14, exec_lo, s16
	s_or_b32 s10, s14, s10
	s_andn2_b32 s11, s11, exec_lo
	s_and_b32 s14, s12, exec_lo
	s_or_b32 s11, s11, s14
	s_andn2_b32 exec_lo, exec_lo, s10
	s_cbranch_execz .LBB2_642
.LBB2_638:                              ; =>This Inner Loop Header: Depth=1
	s_add_i32 s13, s13, 1
	s_cmpk_lg_i32 s13, 0x2710
	s_cselect_b32 s14, -1, 0
	s_and_b32 vcc_lo, exec_lo, s14
	s_cbranch_vccz .LBB2_640
; %bb.639:                              ;   in Loop: Header=BB2_638 Depth=1
	s_mov_b32 s16, -1
	s_or_b32 s12, s12, exec_lo
	s_and_saveexec_b32 s15, s14
	s_cbranch_execz .LBB2_637
	s_branch .LBB2_641
.LBB2_640:                              ;   in Loop: Header=BB2_638 Depth=1
	s_trap 2
	ds_read_b64 v[2:3], v0
	s_andn2_b32 s14, s14, exec_lo
	s_mov_b32 s13, 0
	s_waitcnt lgkmcnt(0)
	flat_load_dword v2, v[2:3] glc dlc
	s_waitcnt vmcnt(0) lgkmcnt(0)
	buffer_gl1_inv
	buffer_gl0_inv
	v_cmp_eq_u32_e32 vcc_lo, 0, v2
	s_and_b32 s15, vcc_lo, exec_lo
	s_or_b32 s14, s14, s15
	s_mov_b32 s16, -1
	s_or_b32 s12, s12, exec_lo
	s_and_saveexec_b32 s15, s14
	s_cbranch_execz .LBB2_637
.LBB2_641:                              ;   in Loop: Header=BB2_638 Depth=1
	s_sleep 1
	s_trap 2
	ds_read_b64 v[2:3], v0
	s_waitcnt lgkmcnt(0)
	buffer_gl0_inv
	s_andn2_b32 s12, s12, exec_lo
	v_cmp_ge_u64_e32 vcc_lo, v[2:3], v[0:1]
	s_orn2_b32 s16, vcc_lo, exec_lo
	s_branch .LBB2_637
.LBB2_642:
	s_inst_prefetch 0x2
	s_or_b32 exec_lo, exec_lo, s10
	s_and_saveexec_b32 s10, s11
	s_xor_b32 s10, exec_lo, s10
	s_cbranch_execz .LBB2_644
; %bb.643:
	v_mov_b32_e32 v0, 1
	ds_write_b32 v0, v0
	s_trap 2
.LBB2_644:
	s_or_b32 exec_lo, exec_lo, s7
	;;#ASMSTART
	s_wakeup
	;;#ASMEND
.LBB2_645:
	s_or_b32 exec_lo, exec_lo, s6
.LBB2_646:
	s_andn2_saveexec_b32 s4, s4
	s_cbranch_execz .LBB2_648
; %bb.647:
	s_waitcnt lgkmcnt(0)
	s_waitcnt_vscnt null, 0x0
	buffer_gl1_inv
	buffer_gl0_inv
	s_barrier
.LBB2_648:
	s_or_b32 exec_lo, exec_lo, s5
.LBB2_649:
	s_andn2_saveexec_b32 s25, s19
	s_cbranch_execz .LBB2_651
; %bb.650:
	s_getpc_b64 s[4:5]
	s_add_u32 s4, s4, __PRETTY_FUNCTION__._ZN10PrimitivesIa7FuncSumIaE12FanSymmetricILi1EELi0E11ProtoSimpleILi2ELi2ELi0ELi1ELi0ELi0EELi0ELb0ELi0ELi0ELi0EEC2EiiPKiS8_PKvPvmhhhP15ncclDevWorkCollP14ncclDevWorkP2pii@rel32@lo+4
	s_addc_u32 s5, s5, __PRETTY_FUNCTION__._ZN10PrimitivesIa7FuncSumIaE12FanSymmetricILi1EELi0E11ProtoSimpleILi2ELi2ELi0ELi1ELi0ELi0EELi0ELb0ELi0ELi0ELi0EEC2EiiPKiS8_PKvPvmhhhP15ncclDevWorkCollP14ncclDevWorkP2pii@rel32@hi+12
	v_mov_b32_e32 v0, s4
	v_mov_b32_e32 v1, s5
	s_getpc_b64 s[6:7]
	s_add_u32 s6, s6, __assert_fail@rel32@lo+4
	s_addc_u32 s7, s7, __assert_fail@rel32@hi+12
	s_swappc_b64 s[30:31], s[6:7]
	; divergent unreachable
.LBB2_651:
	s_or_b32 exec_lo, exec_lo, s25
	s_clause 0xf
	buffer_load_dword v63, off, s[0:3], s33
	buffer_load_dword v62, off, s[0:3], s33 offset:4
	buffer_load_dword v61, off, s[0:3], s33 offset:8
	;; [unrolled: 1-line block ×15, first 2 shown]
	v_readlane_b32 s30, v72, 0
	v_readlane_b32 s31, v72, 1
	s_mov_b32 s32, s33
	s_or_saveexec_b32 s4, -1
	buffer_load_dword v72, off, s[0:3], s33 offset:64 ; 4-byte Folded Reload
	s_mov_b32 exec_lo, s4
	s_mov_b32 s33, s74
	s_waitcnt vmcnt(0) lgkmcnt(0)
	s_setpc_b64 s[30:31]
.Lfunc_end2:
	.size	_ZN12_GLOBAL__N_17runRingIa7FuncSumIaE11ProtoSimpleILi2ELi2ELi0ELi1ELi0ELi0EELi0ELi1ELi0EEEviiP15ncclDevWorkColl, .Lfunc_end2-_ZN12_GLOBAL__N_17runRingIa7FuncSumIaE11ProtoSimpleILi2ELi2ELi0ELi1ELi0ELi0EELi0ELi1ELi0EEEviiP15ncclDevWorkColl
                                        ; -- End function
	.set .L_ZN12_GLOBAL__N_17runRingIa7FuncSumIaE11ProtoSimpleILi2ELi2ELi0ELi1ELi0ELi0EELi0ELi1ELi0EEEviiP15ncclDevWorkColl.num_vgpr, max(120, .L__assert_fail.num_vgpr)
	.set .L_ZN12_GLOBAL__N_17runRingIa7FuncSumIaE11ProtoSimpleILi2ELi2ELi0ELi1ELi0ELi0EELi0ELi1ELi0EEEviiP15ncclDevWorkColl.num_agpr, max(0, .L__assert_fail.num_agpr)
	.set .L_ZN12_GLOBAL__N_17runRingIa7FuncSumIaE11ProtoSimpleILi2ELi2ELi0ELi1ELi0ELi0EELi0ELi1ELi0EEEviiP15ncclDevWorkColl.numbered_sgpr, max(75, .L__assert_fail.numbered_sgpr)
	.set .L_ZN12_GLOBAL__N_17runRingIa7FuncSumIaE11ProtoSimpleILi2ELi2ELi0ELi1ELi0ELi0EELi0ELi1ELi0EEEviiP15ncclDevWorkColl.num_named_barrier, max(0, .L__assert_fail.num_named_barrier)
	.set .L_ZN12_GLOBAL__N_17runRingIa7FuncSumIaE11ProtoSimpleILi2ELi2ELi0ELi1ELi0ELi0EELi0ELi1ELi0EEEviiP15ncclDevWorkColl.private_seg_size, 80+max(.L__assert_fail.private_seg_size)
	.set .L_ZN12_GLOBAL__N_17runRingIa7FuncSumIaE11ProtoSimpleILi2ELi2ELi0ELi1ELi0ELi0EELi0ELi1ELi0EEEviiP15ncclDevWorkColl.uses_vcc, or(1, .L__assert_fail.uses_vcc)
	.set .L_ZN12_GLOBAL__N_17runRingIa7FuncSumIaE11ProtoSimpleILi2ELi2ELi0ELi1ELi0ELi0EELi0ELi1ELi0EEEviiP15ncclDevWorkColl.uses_flat_scratch, or(1, .L__assert_fail.uses_flat_scratch)
	.set .L_ZN12_GLOBAL__N_17runRingIa7FuncSumIaE11ProtoSimpleILi2ELi2ELi0ELi1ELi0ELi0EELi0ELi1ELi0EEEviiP15ncclDevWorkColl.has_dyn_sized_stack, or(0, .L__assert_fail.has_dyn_sized_stack)
	.set .L_ZN12_GLOBAL__N_17runRingIa7FuncSumIaE11ProtoSimpleILi2ELi2ELi0ELi1ELi0ELi0EELi0ELi1ELi0EEEviiP15ncclDevWorkColl.has_recursion, or(1, .L__assert_fail.has_recursion)
	.set .L_ZN12_GLOBAL__N_17runRingIa7FuncSumIaE11ProtoSimpleILi2ELi2ELi0ELi1ELi0ELi0EELi0ELi1ELi0EEEviiP15ncclDevWorkColl.has_indirect_call, or(0, .L__assert_fail.has_indirect_call)
	.section	.AMDGPU.csdata,"",@progbits
; Function info:
; codeLenInByte = 24416
; TotalNumSgprs: 77
; NumVgprs: 120
; ScratchSize: 144
; MemoryBound: 0
	.text
	.p2align	2                               ; -- Begin function _Z50ncclDevFunc_AlltoAllPivot_RING_SIMPLE_Sum_i8_0_0_1v
	.type	_Z50ncclDevFunc_AlltoAllPivot_RING_SIMPLE_Sum_i8_0_0_1v,@function
_Z50ncclDevFunc_AlltoAllPivot_RING_SIMPLE_Sum_i8_0_0_1v: ; @_Z50ncclDevFunc_AlltoAllPivot_RING_SIMPLE_Sum_i8_0_0_1v
; %bb.0:
	s_waitcnt vmcnt(0) expcnt(0) lgkmcnt(0)
	s_mov_b32 s88, s33
	s_mov_b32 s33, s32
	s_or_saveexec_b32 s4, -1
	buffer_store_dword v43, off, s[0:3], s33 offset:16 ; 4-byte Folded Spill
	s_mov_b32 exec_lo, s4
	s_addk_i32 s32, 0x400
	buffer_store_dword v40, off, s[0:3], s33 offset:12 ; 4-byte Folded Spill
	buffer_store_dword v41, off, s[0:3], s33 offset:8 ; 4-byte Folded Spill
	;; [unrolled: 1-line block ×3, first 2 shown]
	buffer_store_dword v72, off, s[0:3], s33 ; 4-byte Folded Spill
	v_writelane_b32 v43, s30, 0
	v_writelane_b32 v43, s31, 1
	s_trap 2
	ds_read_b32 v0, v0
	v_mov_b32_e32 v40, v31
	s_waitcnt lgkmcnt(0)
	v_cmp_gt_i32_e32 vcc_lo, 1, v0
	s_cbranch_vccnz .LBB3_8
; %bb.1:
	v_and_b32_e32 v41, 0x3ff, v40
	v_mov_b32_e32 v42, 5
	s_mov_b32 s75, s12
	s_mov_b64 s[76:77], s[8:9]
	s_mov_b32 s78, 0
	s_inst_prefetch 0x1
	s_branch .LBB3_3
	.p2align	6
.LBB3_2:                                ;   in Loop: Header=BB3_3 Depth=1
	s_or_b32 exec_lo, exec_lo, s79
	s_trap 2
	ds_read_b32 v0, v0
	s_add_i32 s78, s78, 1
	s_waitcnt lgkmcnt(0)
	v_cmp_lt_i32_e32 vcc_lo, s78, v0
	s_cbranch_vccz .LBB3_8
.LBB3_3:                                ; =>This Inner Loop Header: Depth=1
	s_trap 2
	ds_read_b32 v0, v0
	s_cmp_eq_u32 s78, 0
	s_cbranch_scc1 .LBB3_6
; %bb.4:                                ;   in Loop: Header=BB3_3 Depth=1
	s_trap 2
	s_waitcnt lgkmcnt(0)
	ds_read_b32 v1, v0
	s_waitcnt lgkmcnt(0)
	v_xor_b32_e32 v1, v1, v0
	v_and_b32_e32 v1, 0xff0000, v1
	v_cmp_eq_u32_e32 vcc_lo, 0, v1
	s_cbranch_vccnz .LBB3_6
; %bb.5:                                ;   in Loop: Header=BB3_3 Depth=1
	s_waitcnt_vscnt null, 0x0
	s_barrier
	buffer_gl0_inv
	ds_read_b32 v0, v0
.LBB3_6:                                ;   in Loop: Header=BB3_3 Depth=1
	s_waitcnt lgkmcnt(0)
	v_lshlrev_b32_sdwa v1, v42, v0 dst_sel:DWORD dst_unused:UNUSED_PAD src0_sel:DWORD src1_sel:BYTE_2
	s_mov_b32 s79, exec_lo
	v_cmpx_lt_u32_e64 v41, v1
	s_cbranch_execz .LBB3_2
; %bb.7:                                ;   in Loop: Header=BB3_3 Depth=1
	s_mov_b64 s[4:5], src_shared_base
	v_mov_b32_e32 v31, v40
	v_mov_b32_e32 v0, v41
	;; [unrolled: 1-line block ×3, first 2 shown]
	s_getpc_b64 s[6:7]
	s_add_u32 s6, s6, _ZN12_GLOBAL__N_17runRingIa7FuncSumIaE11ProtoSimpleILi2ELi2ELi0ELi1ELi0ELi0EELi0ELi1ELi0EEEviiP15ncclDevWorkColl@rel32@lo+4
	s_addc_u32 s7, s7, _ZN12_GLOBAL__N_17runRingIa7FuncSumIaE11ProtoSimpleILi2ELi2ELi0ELi1ELi0ELi0EELi0ELi1ELi0EEEviiP15ncclDevWorkColl@rel32@hi+12
	s_mov_b64 s[8:9], s[76:77]
	s_mov_b32 s12, s75
	s_swappc_b64 s[30:31], s[6:7]
	s_branch .LBB3_2
.LBB3_8:
	s_inst_prefetch 0x2
	s_clause 0x3
	buffer_load_dword v72, off, s[0:3], s33
	buffer_load_dword v42, off, s[0:3], s33 offset:4
	buffer_load_dword v41, off, s[0:3], s33 offset:8
	;; [unrolled: 1-line block ×3, first 2 shown]
	v_readlane_b32 s30, v43, 0
	v_readlane_b32 s31, v43, 1
	s_mov_b32 s32, s33
	s_or_saveexec_b32 s4, -1
	buffer_load_dword v43, off, s[0:3], s33 offset:16 ; 4-byte Folded Reload
	s_mov_b32 exec_lo, s4
	s_mov_b32 s33, s88
	s_waitcnt vmcnt(0)
	s_setpc_b64 s[30:31]
.Lfunc_end3:
	.size	_Z50ncclDevFunc_AlltoAllPivot_RING_SIMPLE_Sum_i8_0_0_1v, .Lfunc_end3-_Z50ncclDevFunc_AlltoAllPivot_RING_SIMPLE_Sum_i8_0_0_1v
                                        ; -- End function
	.set .L_Z50ncclDevFunc_AlltoAllPivot_RING_SIMPLE_Sum_i8_0_0_1v.num_vgpr, max(73, .L_ZN12_GLOBAL__N_17runRingIa7FuncSumIaE11ProtoSimpleILi2ELi2ELi0ELi1ELi0ELi0EELi0ELi1ELi0EEEviiP15ncclDevWorkColl.num_vgpr)
	.set .L_Z50ncclDevFunc_AlltoAllPivot_RING_SIMPLE_Sum_i8_0_0_1v.num_agpr, max(0, .L_ZN12_GLOBAL__N_17runRingIa7FuncSumIaE11ProtoSimpleILi2ELi2ELi0ELi1ELi0ELi0EELi0ELi1ELi0EEEviiP15ncclDevWorkColl.num_agpr)
	.set .L_Z50ncclDevFunc_AlltoAllPivot_RING_SIMPLE_Sum_i8_0_0_1v.numbered_sgpr, max(89, .L_ZN12_GLOBAL__N_17runRingIa7FuncSumIaE11ProtoSimpleILi2ELi2ELi0ELi1ELi0ELi0EELi0ELi1ELi0EEEviiP15ncclDevWorkColl.numbered_sgpr)
	.set .L_Z50ncclDevFunc_AlltoAllPivot_RING_SIMPLE_Sum_i8_0_0_1v.num_named_barrier, max(0, .L_ZN12_GLOBAL__N_17runRingIa7FuncSumIaE11ProtoSimpleILi2ELi2ELi0ELi1ELi0ELi0EELi0ELi1ELi0EEEviiP15ncclDevWorkColl.num_named_barrier)
	.set .L_Z50ncclDevFunc_AlltoAllPivot_RING_SIMPLE_Sum_i8_0_0_1v.private_seg_size, 32+max(.L_ZN12_GLOBAL__N_17runRingIa7FuncSumIaE11ProtoSimpleILi2ELi2ELi0ELi1ELi0ELi0EELi0ELi1ELi0EEEviiP15ncclDevWorkColl.private_seg_size)
	.set .L_Z50ncclDevFunc_AlltoAllPivot_RING_SIMPLE_Sum_i8_0_0_1v.uses_vcc, or(1, .L_ZN12_GLOBAL__N_17runRingIa7FuncSumIaE11ProtoSimpleILi2ELi2ELi0ELi1ELi0ELi0EELi0ELi1ELi0EEEviiP15ncclDevWorkColl.uses_vcc)
	.set .L_Z50ncclDevFunc_AlltoAllPivot_RING_SIMPLE_Sum_i8_0_0_1v.uses_flat_scratch, or(0, .L_ZN12_GLOBAL__N_17runRingIa7FuncSumIaE11ProtoSimpleILi2ELi2ELi0ELi1ELi0ELi0EELi0ELi1ELi0EEEviiP15ncclDevWorkColl.uses_flat_scratch)
	.set .L_Z50ncclDevFunc_AlltoAllPivot_RING_SIMPLE_Sum_i8_0_0_1v.has_dyn_sized_stack, or(0, .L_ZN12_GLOBAL__N_17runRingIa7FuncSumIaE11ProtoSimpleILi2ELi2ELi0ELi1ELi0ELi0EELi0ELi1ELi0EEEviiP15ncclDevWorkColl.has_dyn_sized_stack)
	.set .L_Z50ncclDevFunc_AlltoAllPivot_RING_SIMPLE_Sum_i8_0_0_1v.has_recursion, or(1, .L_ZN12_GLOBAL__N_17runRingIa7FuncSumIaE11ProtoSimpleILi2ELi2ELi0ELi1ELi0ELi0EELi0ELi1ELi0EEEviiP15ncclDevWorkColl.has_recursion)
	.set .L_Z50ncclDevFunc_AlltoAllPivot_RING_SIMPLE_Sum_i8_0_0_1v.has_indirect_call, or(0, .L_ZN12_GLOBAL__N_17runRingIa7FuncSumIaE11ProtoSimpleILi2ELi2ELi0ELi1ELi0ELi0EELi0ELi1ELi0EEEviiP15ncclDevWorkColl.has_indirect_call)
	.section	.AMDGPU.csdata,"",@progbits
; Function info:
; codeLenInByte = 476
; TotalNumSgprs: 91
; NumVgprs: 120
; ScratchSize: 176
; MemoryBound: 0
	.text
	.p2align	2                               ; -- Begin function _ZN12_GLOBAL__N_17runRingIa7FuncSumIaE11ProtoSimpleILi2ELi2ELi0ELi2ELi0ELi0EELi0ELi2ELi0EEEviiP15ncclDevWorkColl
	.type	_ZN12_GLOBAL__N_17runRingIa7FuncSumIaE11ProtoSimpleILi2ELi2ELi0ELi2ELi0ELi0EELi0ELi2ELi0EEEviiP15ncclDevWorkColl,@function
_ZN12_GLOBAL__N_17runRingIa7FuncSumIaE11ProtoSimpleILi2ELi2ELi0ELi2ELi0ELi0EELi0ELi2ELi0EEEviiP15ncclDevWorkColl: ; @_ZN12_GLOBAL__N_17runRingIa7FuncSumIaE11ProtoSimpleILi2ELi2ELi0ELi2ELi0ELi0EELi0ELi2ELi0EEEviiP15ncclDevWorkColl
; %bb.0:
	s_waitcnt vmcnt(0) expcnt(0) lgkmcnt(0)
	s_mov_b32 s74, s33
	s_mov_b32 s33, s32
	s_or_saveexec_b32 s4, -1
	buffer_store_dword v79, off, s[0:3], s33 offset:92 ; 4-byte Folded Spill
	s_mov_b32 exec_lo, s4
	s_addk_i32 s32, 0xe00
	buffer_store_dword v40, off, s[0:3], s33 offset:88 ; 4-byte Folded Spill
	buffer_store_dword v41, off, s[0:3], s33 offset:84 ; 4-byte Folded Spill
	;; [unrolled: 1-line block ×22, first 2 shown]
	buffer_store_dword v78, off, s[0:3], s33 ; 4-byte Folded Spill
	v_writelane_b32 v79, s30, 0
	v_writelane_b32 v79, s31, 1
	s_trap 2
	s_clause 0x2
	flat_load_dword v10, v[2:3]
	flat_load_dwordx4 v[4:7], v[2:3] offset:72
	flat_load_dwordx2 v[8:9], v[2:3] offset:88
	ds_read_b32 v14, v0
	s_mov_b32 s4, exec_lo
                                        ; implicit-def: $vgpr24_vgpr25
	s_waitcnt lgkmcnt(0)
	v_readfirstlane_b32 s18, v14
	s_waitcnt vmcnt(2)
	v_and_b32_e32 v12, 0xff, v10
	v_bfe_u32 v13, v10, 8, 8
	v_cmpx_ne_u32_e64 v14, v12
	s_xor_b32 s4, exec_lo, s4
	s_cbranch_execz .LBB4_6
; %bb.1:
	flat_load_dwordx2 v[10:11], v[2:3] offset:96
	s_mov_b32 s5, exec_lo
                                        ; implicit-def: $vgpr24_vgpr25
	v_cmpx_ne_u32_e64 v14, v13
	s_xor_b32 s5, exec_lo, s5
	s_cbranch_execz .LBB4_3
; %bb.2:
	s_waitcnt vmcnt(0) lgkmcnt(0)
	v_lshrrev_b64 v[24:25], 12, v[10:11]
                                        ; implicit-def: $vgpr10_vgpr11
.LBB4_3:
	s_andn2_saveexec_b32 s5, s5
	s_cbranch_execz .LBB4_5
; %bb.4:
	s_waitcnt vmcnt(0) lgkmcnt(0)
	v_lshrrev_b32_e32 v24, 1, v11
.LBB4_5:
	s_or_b32 exec_lo, exec_lo, s5
.LBB4_6:
	s_andn2_saveexec_b32 s4, s4
	s_cbranch_execz .LBB4_8
; %bb.7:
	s_waitcnt vmcnt(0) lgkmcnt(0)
	flat_load_dwordx2 v[10:11], v[2:3] offset:96
	s_waitcnt vmcnt(0) lgkmcnt(0)
	v_lshlrev_b64 v[24:25], 9, v[10:11]
.LBB4_8:
	s_or_b32 exec_lo, exec_lo, s4
	s_waitcnt vmcnt(0) lgkmcnt(0)
	flat_load_ushort v10, v[2:3] offset:8
	v_xad_u32 v11, v12, -1, v13
                                        ; implicit-def: $vgpr27_vgpr28
	v_ashrrev_i32_e32 v15, 31, v11
	v_mul_lo_u32 v7, v7, v11
	v_mad_u64_u32 v[4:5], null, v6, v11, v[4:5]
	v_mul_lo_u32 v6, v6, v15
	v_add_co_u32 v30, vcc_lo, v4, v8
	v_add3_u32 v5, v7, v5, v6
	v_add_co_ci_u32_e64 v85, null, v5, v9, vcc_lo
	v_sub_co_u32 v6, vcc_lo, 0, v30
	v_sub_co_ci_u32_e64 v4, null, 0, v85, vcc_lo
	v_and_b32_e32 v6, v30, v6
	v_and_b32_e32 v4, v85, v4
	v_cvt_f64_u32_e32 v[6:7], v6
	v_cvt_f64_u32_e32 v[4:5], v4
	v_ldexp_f64 v[4:5], v[4:5], 32
	v_add_f64 v[4:5], v[4:5], v[6:7]
	v_min_f64 v[4:5], 0x40700000, v[4:5]
	v_cvt_i32_f64_e32 v50, v[4:5]
	v_ashrrev_i32_e32 v51, 31, v50
	v_or_b32_e32 v5, v85, v51
	s_waitcnt vmcnt(0) lgkmcnt(0)
	v_lshrrev_b32_e32 v32, 1, v10
	v_lshlrev_b32_e32 v6, 1, v32
	v_sub_nc_u32_e32 v7, 0, v6
	v_max_i32_e32 v8, v6, v7
	v_cvt_f32_u32_e32 v7, v8
	v_rcp_iflag_f32_e32 v7, v7
	v_mul_f32_e32 v4, 0x4f7ffffe, v7
	v_sub_nc_u32_e32 v7, v14, v12
	v_cvt_u32_f32_e32 v9, v4
	v_sub_nc_u32_e32 v4, 0, v8
	v_sub_nc_u32_e32 v10, 0, v7
	v_mul_lo_u32 v4, v4, v9
	v_max_i32_e32 v33, v7, v10
	v_mul_hi_u32 v11, v9, v4
	v_mov_b32_e32 v4, 0
	v_cmp_ne_u64_e32 vcc_lo, 0, v[4:5]
	v_add_nc_u32_e32 v4, v9, v11
	s_and_saveexec_b32 s4, vcc_lo
	s_xor_b32 s5, exec_lo, s4
	s_cbranch_execz .LBB4_10
; %bb.9:
	v_cvt_f32_u32_e32 v5, v50
	v_cvt_f32_u32_e32 v9, v51
	v_sub_co_u32 v18, vcc_lo, 0, v50
	v_sub_co_ci_u32_e64 v19, null, 0, v51, vcc_lo
	v_fmamk_f32 v5, v9, 0x4f800000, v5
	v_rcp_f32_e32 v5, v5
	v_mul_f32_e32 v5, 0x5f7ffffc, v5
	v_mul_f32_e32 v9, 0x2f800000, v5
	v_trunc_f32_e32 v9, v9
	v_fmamk_f32 v5, v9, 0xcf800000, v5
	v_cvt_u32_f32_e32 v20, v9
	v_cvt_u32_f32_e32 v5, v5
	v_mul_lo_u32 v11, v18, v20
	v_mul_lo_u32 v14, v19, v5
	v_mad_u64_u32 v[9:10], null, v18, v5, 0
	v_add3_u32 v16, v10, v11, v14
	v_mul_hi_u32 v21, v5, v9
	v_mad_u64_u32 v[14:15], null, v20, v9, 0
	v_mad_u64_u32 v[10:11], null, v5, v16, 0
	;; [unrolled: 1-line block ×3, first 2 shown]
	v_add_co_u32 v9, vcc_lo, v21, v10
	v_add_co_ci_u32_e64 v10, null, 0, v11, vcc_lo
	v_add_co_u32 v9, vcc_lo, v9, v14
	v_add_co_ci_u32_e32 v9, vcc_lo, v10, v15, vcc_lo
	v_add_co_ci_u32_e32 v10, vcc_lo, 0, v17, vcc_lo
	v_add_co_u32 v9, vcc_lo, v9, v16
	v_add_co_ci_u32_e64 v10, null, 0, v10, vcc_lo
	v_add_co_u32 v5, vcc_lo, v5, v9
	v_add_co_ci_u32_e64 v20, null, v20, v10, vcc_lo
	v_mul_lo_u32 v11, v19, v5
	v_mad_u64_u32 v[9:10], null, v18, v5, 0
	v_mul_lo_u32 v14, v18, v20
	v_mul_hi_u32 v18, v5, v9
	v_add3_u32 v16, v10, v14, v11
	v_mad_u64_u32 v[14:15], null, v20, v9, 0
	v_mad_u64_u32 v[10:11], null, v5, v16, 0
	;; [unrolled: 1-line block ×3, first 2 shown]
	v_add_co_u32 v9, vcc_lo, v18, v10
	v_add_co_ci_u32_e64 v10, null, 0, v11, vcc_lo
	v_add_co_u32 v9, vcc_lo, v9, v14
	v_add_co_ci_u32_e32 v9, vcc_lo, v10, v15, vcc_lo
	v_add_co_ci_u32_e32 v10, vcc_lo, 0, v17, vcc_lo
	v_add_co_u32 v9, vcc_lo, v9, v16
	v_add_co_ci_u32_e64 v10, null, 0, v10, vcc_lo
	v_add_co_u32 v5, vcc_lo, v5, v9
	v_add_co_ci_u32_e64 v11, null, v20, v10, vcc_lo
	v_mul_hi_u32 v18, v30, v5
	v_mad_u64_u32 v[14:15], null, v85, v5, 0
	v_mad_u64_u32 v[9:10], null, v30, v11, 0
	;; [unrolled: 1-line block ×3, first 2 shown]
	v_add_co_u32 v5, vcc_lo, v18, v9
	v_add_co_ci_u32_e64 v9, null, 0, v10, vcc_lo
	v_add_co_u32 v5, vcc_lo, v5, v14
	v_add_co_ci_u32_e32 v5, vcc_lo, v9, v15, vcc_lo
	v_add_co_ci_u32_e32 v9, vcc_lo, 0, v17, vcc_lo
	v_add_co_u32 v5, vcc_lo, v5, v16
	v_add_co_ci_u32_e64 v11, null, 0, v9, vcc_lo
	v_mul_lo_u32 v14, v51, v5
	v_mad_u64_u32 v[9:10], null, v50, v5, 0
	v_mul_lo_u32 v15, v50, v11
	v_sub_co_u32 v9, vcc_lo, v30, v9
	v_add3_u32 v10, v10, v15, v14
	v_add_co_u32 v15, s4, v5, 2
	v_add_co_ci_u32_e64 v16, null, 0, v11, s4
	v_sub_nc_u32_e32 v14, v85, v10
	v_sub_co_u32 v17, s4, v9, v50
	v_sub_co_ci_u32_e64 v10, null, v85, v10, vcc_lo
	v_sub_co_ci_u32_e64 v14, null, v14, v51, vcc_lo
	v_cmp_ge_u32_e32 vcc_lo, v17, v50
	v_subrev_co_ci_u32_e64 v14, null, 0, v14, s4
	v_cndmask_b32_e64 v17, 0, -1, vcc_lo
	v_cmp_eq_u32_e64 s4, v10, v51
	v_cmp_ge_u32_e32 vcc_lo, v14, v51
	v_cndmask_b32_e64 v18, 0, -1, vcc_lo
	v_cmp_ge_u32_e32 vcc_lo, v9, v50
	v_cndmask_b32_e64 v9, 0, -1, vcc_lo
	;; [unrolled: 2-line block ×3, first 2 shown]
	v_cmp_eq_u32_e32 vcc_lo, v14, v51
	v_cndmask_b32_e64 v9, v19, v9, s4
	v_cndmask_b32_e32 v14, v18, v17, vcc_lo
	v_add_co_u32 v17, vcc_lo, v5, 1
	v_add_co_ci_u32_e64 v18, null, 0, v11, vcc_lo
	v_cmp_ne_u32_e32 vcc_lo, 0, v14
	v_cndmask_b32_e32 v10, v18, v16, vcc_lo
	v_cndmask_b32_e32 v14, v17, v15, vcc_lo
	v_cmp_ne_u32_e32 vcc_lo, 0, v9
	v_cndmask_b32_e32 v28, v11, v10, vcc_lo
	v_cndmask_b32_e32 v27, v5, v14, vcc_lo
.LBB4_10:
	s_or_saveexec_b32 s4, s5
	v_mad_u64_u32 v[4:5], null, v33, v4, 0
	s_xor_b32 exec_lo, exec_lo, s4
	s_cbranch_execz .LBB4_12
; %bb.11:
	v_cvt_f32_u32_e32 v4, v50
	v_sub_nc_u32_e32 v9, 0, v50
	v_mov_b32_e32 v28, 0
	v_rcp_iflag_f32_e32 v4, v4
	v_mul_f32_e32 v4, 0x4f7ffffe, v4
	v_cvt_u32_f32_e32 v4, v4
	v_mul_lo_u32 v9, v9, v4
	v_mul_hi_u32 v9, v4, v9
	v_add_nc_u32_e32 v4, v4, v9
	v_mul_hi_u32 v4, v30, v4
	v_mul_lo_u32 v9, v4, v50
	v_add_nc_u32_e32 v10, 1, v4
	v_sub_nc_u32_e32 v9, v30, v9
	v_sub_nc_u32_e32 v11, v9, v50
	v_cmp_ge_u32_e32 vcc_lo, v9, v50
	v_cndmask_b32_e32 v9, v9, v11, vcc_lo
	v_cndmask_b32_e32 v4, v4, v10, vcc_lo
	v_cmp_ge_u32_e32 vcc_lo, v9, v50
	v_add_nc_u32_e32 v10, 1, v4
	v_cndmask_b32_e32 v27, v4, v10, vcc_lo
.LBB4_12:
	s_or_b32 exec_lo, exec_lo, s4
	v_sub_nc_u32_e32 v4, v13, v12
                                        ; implicit-def: $vgpr38_vgpr39
	s_mov_b32 s4, exec_lo
	v_add_nc_u16 v4, v4, 1
	v_lshrrev_b16 v9, 15, v4
	v_add_nc_u16 v4, v4, v9
	v_mov_b32_e32 v9, 0
	v_ashrrev_i16 v4, 1, v4
	v_bfe_i32 v34, v4, 0, 16
	v_ashrrev_i32_e32 v4, 31, v34
	v_or_b32_e32 v10, v28, v4
	v_cmpx_ne_u64_e32 0, v[9:10]
	s_xor_b32 s5, exec_lo, s4
	s_cbranch_execz .LBB4_14
; %bb.13:
	v_ashrrev_i32_e32 v16, 31, v4
	v_add_co_u32 v9, vcc_lo, v34, v16
	v_add_co_ci_u32_e64 v4, null, v4, v16, vcc_lo
	v_xor_b32_e32 v17, v9, v16
	v_xor_b32_e32 v4, v4, v16
	v_cvt_f32_u32_e32 v9, v17
	v_sub_co_u32 v18, vcc_lo, 0, v17
	v_cvt_f32_u32_e32 v10, v4
	v_sub_co_ci_u32_e64 v19, null, 0, v4, vcc_lo
	v_fmamk_f32 v9, v10, 0x4f800000, v9
	v_rcp_f32_e32 v9, v9
	v_mul_f32_e32 v9, 0x5f7ffffc, v9
	v_mul_f32_e32 v10, 0x2f800000, v9
	v_trunc_f32_e32 v10, v10
	v_fmamk_f32 v9, v10, 0xcf800000, v9
	v_cvt_u32_f32_e32 v20, v10
	v_cvt_u32_f32_e32 v21, v9
	v_mul_lo_u32 v11, v18, v20
	v_mul_lo_u32 v12, v19, v21
	v_mad_u64_u32 v[9:10], null, v18, v21, 0
	v_add3_u32 v14, v10, v11, v12
	v_mul_hi_u32 v22, v21, v9
	v_mad_u64_u32 v[12:13], null, v20, v9, 0
	v_mad_u64_u32 v[10:11], null, v21, v14, 0
	;; [unrolled: 1-line block ×3, first 2 shown]
	v_add_co_u32 v9, vcc_lo, v22, v10
	v_add_co_ci_u32_e64 v10, null, 0, v11, vcc_lo
	v_add_co_u32 v9, vcc_lo, v9, v12
	v_add_co_ci_u32_e32 v9, vcc_lo, v10, v13, vcc_lo
	v_add_co_ci_u32_e32 v10, vcc_lo, 0, v15, vcc_lo
	v_add_co_u32 v9, vcc_lo, v9, v14
	v_add_co_ci_u32_e64 v10, null, 0, v10, vcc_lo
	v_add_co_u32 v21, vcc_lo, v21, v9
	v_add_co_ci_u32_e64 v20, null, v20, v10, vcc_lo
	v_mul_lo_u32 v11, v19, v21
	v_mad_u64_u32 v[9:10], null, v18, v21, 0
	v_mul_lo_u32 v12, v18, v20
	v_mul_hi_u32 v18, v21, v9
	v_add3_u32 v14, v10, v12, v11
	v_mad_u64_u32 v[12:13], null, v20, v9, 0
	v_mad_u64_u32 v[10:11], null, v21, v14, 0
	;; [unrolled: 1-line block ×3, first 2 shown]
	v_add_co_u32 v9, vcc_lo, v18, v10
	v_add_co_ci_u32_e64 v10, null, 0, v11, vcc_lo
	v_ashrrev_i32_e32 v18, 31, v28
	v_add_co_u32 v9, vcc_lo, v9, v12
	v_add_co_ci_u32_e32 v9, vcc_lo, v10, v13, vcc_lo
	v_add_co_ci_u32_e32 v10, vcc_lo, 0, v15, vcc_lo
	v_add_co_u32 v11, vcc_lo, v27, v18
	v_add_co_ci_u32_e64 v12, null, v28, v18, vcc_lo
	v_add_co_u32 v9, vcc_lo, v9, v14
	v_add_co_ci_u32_e64 v10, null, 0, v10, vcc_lo
	v_xor_b32_e32 v15, v11, v18
	v_add_co_u32 v11, vcc_lo, v21, v9
	v_add_co_ci_u32_e64 v13, null, v20, v10, vcc_lo
	v_xor_b32_e32 v19, v12, v18
	v_mul_hi_u32 v20, v15, v11
	v_mad_u64_u32 v[9:10], null, v15, v13, 0
	v_mad_u64_u32 v[11:12], null, v19, v11, 0
	;; [unrolled: 1-line block ×3, first 2 shown]
	v_add_co_u32 v9, vcc_lo, v20, v9
	v_add_co_ci_u32_e64 v10, null, 0, v10, vcc_lo
	v_add_co_u32 v9, vcc_lo, v9, v11
	v_add_co_ci_u32_e32 v9, vcc_lo, v10, v12, vcc_lo
	v_add_co_ci_u32_e32 v10, vcc_lo, 0, v14, vcc_lo
	v_add_co_u32 v11, vcc_lo, v9, v13
	v_add_co_ci_u32_e64 v12, null, 0, v10, vcc_lo
	v_mul_lo_u32 v13, v4, v11
	v_mad_u64_u32 v[9:10], null, v17, v11, 0
	v_mul_lo_u32 v14, v17, v12
	v_sub_co_u32 v9, vcc_lo, v15, v9
	v_add3_u32 v10, v10, v14, v13
	v_add_co_u32 v14, s4, v11, 2
	v_add_co_ci_u32_e64 v15, null, 0, v12, s4
	v_sub_nc_u32_e32 v13, v19, v10
	v_sub_co_u32 v20, s4, v9, v17
	v_sub_co_ci_u32_e64 v10, null, v19, v10, vcc_lo
	v_sub_co_ci_u32_e64 v13, null, v13, v4, vcc_lo
	v_cmp_ge_u32_e32 vcc_lo, v20, v17
	v_subrev_co_ci_u32_e64 v13, null, 0, v13, s4
	v_cndmask_b32_e64 v19, 0, -1, vcc_lo
	v_cmp_ge_u32_e32 vcc_lo, v13, v4
	v_cndmask_b32_e64 v20, 0, -1, vcc_lo
	v_cmp_ge_u32_e32 vcc_lo, v9, v17
	;; [unrolled: 2-line block ×3, first 2 shown]
	v_cndmask_b32_e64 v17, 0, -1, vcc_lo
	v_cmp_eq_u32_e32 vcc_lo, v13, v4
	v_cndmask_b32_e32 v13, v20, v19, vcc_lo
	v_add_co_u32 v19, vcc_lo, v11, 1
	v_add_co_ci_u32_e64 v20, null, 0, v12, vcc_lo
	v_cmp_eq_u32_e32 vcc_lo, v10, v4
	v_xor_b32_e32 v10, v18, v16
	v_cndmask_b32_e32 v4, v17, v9, vcc_lo
	v_cmp_ne_u32_e32 vcc_lo, 0, v13
	v_cmp_ne_u32_e64 s4, 0, v4
	v_cndmask_b32_e32 v4, v19, v14, vcc_lo
	v_cndmask_b32_e32 v9, v20, v15, vcc_lo
	v_cndmask_b32_e64 v4, v11, v4, s4
	v_cndmask_b32_e64 v9, v12, v9, s4
	v_xor_b32_e32 v4, v4, v10
	v_xor_b32_e32 v9, v9, v10
	v_sub_co_u32 v38, vcc_lo, v4, v10
	v_sub_co_ci_u32_e64 v39, null, v9, v10, vcc_lo
.LBB4_14:
	s_andn2_saveexec_b32 s4, s5
	s_cbranch_execz .LBB4_16
; %bb.15:
	v_cvt_f32_u32_e32 v4, v34
	v_sub_nc_u32_e32 v9, 0, v34
	v_mov_b32_e32 v39, 0
	v_rcp_iflag_f32_e32 v4, v4
	v_mul_f32_e32 v4, 0x4f7ffffe, v4
	v_cvt_u32_f32_e32 v4, v4
	v_mul_lo_u32 v9, v9, v4
	v_mul_hi_u32 v9, v4, v9
	v_add_nc_u32_e32 v4, v4, v9
	v_mul_hi_u32 v4, v27, v4
	v_mul_lo_u32 v9, v4, v34
	v_add_nc_u32_e32 v10, 1, v4
	v_sub_nc_u32_e32 v9, v27, v9
	v_sub_nc_u32_e32 v11, v9, v34
	v_cmp_ge_u32_e32 vcc_lo, v9, v34
	v_cndmask_b32_e32 v9, v9, v11, vcc_lo
	v_cndmask_b32_e32 v4, v4, v10, vcc_lo
	v_cmp_ge_u32_e32 vcc_lo, v9, v34
	v_add_nc_u32_e32 v10, 1, v4
	v_cndmask_b32_e32 v38, v4, v10, vcc_lo
.LBB4_16:
	s_or_b32 exec_lo, exec_lo, s4
	s_trap 2
	ds_read_b64 v[9:10], v0
	v_mul_lo_u32 v4, v5, v8
	s_mov_b32 s7, exec_lo
	v_sub_nc_u32_e32 v11, v33, v4
	v_cmp_ge_u32_e64 s5, v11, v8
	s_waitcnt lgkmcnt(0)
	v_cmp_ne_u32_e32 vcc_lo, -1, v9
	v_sub_nc_u32_e32 v9, v11, v8
	v_cndmask_b32_e64 v52, 0, 1, vcc_lo
	v_cmp_ne_u32_e32 vcc_lo, -1, v10
	v_cndmask_b32_e64 v9, v11, v9, s5
	v_add_co_ci_u32_e64 v4, null, 0, v52, vcc_lo
	v_cmp_ge_u32_e64 s4, v9, v8
	v_lshlrev_b32_e32 v10, 1, v4
	v_cmpx_le_u32_e64 v10, v1
	s_xor_b32 s19, exec_lo, s7
	s_cbranch_execz .LBB4_649
; %bb.17:
	flat_load_dwordx4 v[8:11], v[2:3] offset:16
	s_trap 2
	s_load_dword s6, s[8:9], 0x0
	v_mov_b32_e32 v12, 0
	v_add_nc_u32_e32 v13, 1, v5
	v_ashrrev_i32_e32 v35, 31, v7
	ds_read_b32 v15, v0
	v_mov_b32_e32 v87, 4
	v_cndmask_b32_e64 v5, v5, v13, s5
	v_bfe_i32 v13, v32, 30, 1
	s_mov_b32 s5, exec_lo
	v_add_nc_u32_e32 v14, 1, v5
	v_xor_b32_e32 v13, v35, v13
	v_cndmask_b32_e64 v5, v5, v14, s4
	v_sub_nc_u32_e32 v14, 0, v32
	s_waitcnt lgkmcnt(0)
	s_cmp_lt_u32 s12, s6
	s_cselect_b32 s6, 12, 18
	v_xor_b32_e32 v5, v5, v13
	s_add_u32 s6, s8, s6
	s_addc_u32 s7, s9, 0
	v_readfirstlane_b32 s10, v15
	global_load_ushort v86, v12, s[6:7]
	v_cvt_f32_u32_e32 v12, v32
	v_sub_nc_u32_e32 v36, v5, v13
	v_rcp_iflag_f32_e32 v12, v12
	v_mul_lo_u32 v6, v36, v6
	v_sub_nc_u32_e32 v53, v7, v6
	v_mul_f32_e32 v12, 0x4f7ffffe, v12
	v_sub_nc_u32_e32 v6, 0, v53
	v_cvt_u32_f32_e32 v12, v12
	v_mul_lo_u32 v5, v14, v12
	v_mul_hi_u32 v5, v12, v5
	v_add_nc_u32_e32 v5, v12, v5
	v_cmpx_ge_i32_e64 v0, v52
	s_cbranch_execz .LBB4_27
; %bb.18:
	v_cmp_ge_u32_e64 s4, v0, v4
                                        ; implicit-def: $vgpr87
	s_and_saveexec_b32 s6, s4
	s_xor_b32 s4, exec_lo, s6
	s_cbranch_execz .LBB4_24
; %bb.19:
	v_cndmask_b32_e64 v7, 0, 1, vcc_lo
	s_mov_b32 s6, exec_lo
	v_sub_nc_u32_e32 v7, v1, v7
	v_cmpx_ge_u32_e64 v0, v7
	s_xor_b32 s6, exec_lo, s6
; %bb.20:
                                        ; implicit-def: $vgpr4
; %bb.21:
	s_or_saveexec_b32 s6, s6
	v_mov_b32_e32 v87, 16
	s_xor_b32 exec_lo, exec_lo, s6
; %bb.22:
	v_sub_nc_u32_e32 v4, v1, v4
	v_cmp_lt_i32_e32 vcc_lo, v0, v4
	v_cndmask_b32_e64 v87, 32, 0, vcc_lo
; %bb.23:
	s_or_b32 exec_lo, exec_lo, s6
.LBB4_24:
	s_andn2_saveexec_b32 s4, s4
; %bb.25:
	v_mov_b32_e32 v87, 8
; %bb.26:
	s_or_b32 exec_lo, exec_lo, s4
.LBB4_27:
	s_or_b32 exec_lo, exec_lo, s5
	v_and_b32_e32 v4, 36, v87
	v_max_i32_e32 v37, v53, v6
	v_mov_b32_e32 v6, -1
	v_cmp_ne_u32_e32 vcc_lo, 0, v4
	s_and_saveexec_b32 s4, vcc_lo
	s_cbranch_execz .LBB4_29
; %bb.28:
	s_trap 2
	ds_read_b32 v6, v0
.LBB4_29:
	s_or_b32 exec_lo, exec_lo, s4
	v_mad_u64_u32 v[25:26], null, v33, v5, 0
	v_mad_u64_u32 v[28:29], null, v37, v5, 0
	v_and_b32_e32 v4, 24, v87
	s_mov_b32 s5, exec_lo
	v_cmpx_ne_u32_e32 0, v4
	s_cbranch_execz .LBB4_31
; %bb.30:
	s_trap 2
	s_waitcnt lgkmcnt(0)
	ds_read_b32 v6, v0
.LBB4_31:
	s_or_b32 exec_lo, exec_lo, s5
	v_mov_b32_e32 v14, 0
	v_mov_b32_e32 v4, 0
	;; [unrolled: 1-line block ×4, first 2 shown]
	s_waitcnt lgkmcnt(0)
	v_ashrrev_i32_e32 v7, 31, v6
                                        ; implicit-def: $vgpr12_vgpr13
                                        ; implicit-def: $vgpr96
                                        ; implicit-def: $vgpr22_vgpr23
                                        ; implicit-def: $vgpr48_vgpr49
                                        ; implicit-def: $vgpr18_vgpr19
                                        ; implicit-def: $vgpr16_vgpr17
	s_and_saveexec_b32 s4, vcc_lo
	s_cbranch_execz .LBB4_41
; %bb.32:
	s_trap 2
	ds_read_b64 v[4:5], v0
	v_lshlrev_b64 v[12:13], 3, v[6:7]
	s_mov_b32 s5, exec_lo
	s_waitcnt lgkmcnt(0)
	v_add_co_u32 v4, vcc_lo, v4, v12
	v_add_co_ci_u32_e64 v5, null, v5, v13, vcc_lo
                                        ; implicit-def: $vgpr12_vgpr13
	flat_load_dwordx2 v[20:21], v[4:5]
	s_waitcnt vmcnt(0) lgkmcnt(0)
	flat_load_dword v4, v[20:21] offset:640
	s_waitcnt vmcnt(0) lgkmcnt(0)
	v_cmpx_eq_u32_e32 1, v4
	s_cbranch_execz .LBB4_34
; %bb.33:
	flat_load_dwordx2 v[12:13], v[20:21] offset:648
	v_or_b32_e32 v87, 0x2000, v87
	s_waitcnt vmcnt(0) lgkmcnt(0)
	flat_load_dwordx2 v[4:5], v[12:13]
	s_trap 2
	s_waitcnt vmcnt(0) lgkmcnt(0)
	ds_write_b64 v0, v[4:5]
	flat_load_dwordx2 v[4:5], v[12:13] offset:8
	s_waitcnt vmcnt(0) lgkmcnt(0)
	ds_write_b64 v0, v[4:5]
	flat_load_dwordx2 v[4:5], v[12:13] offset:16
	s_waitcnt vmcnt(0) lgkmcnt(0)
	ds_write_b64 v0, v[4:5]
.LBB4_34:
	s_or_b32 exec_lo, exec_lo, s5
	flat_load_dwordx2 v[4:5], v[20:21] offset:608
	v_and_b32_e32 v14, 32, v87
	s_mov_b32 s5, exec_lo
                                        ; implicit-def: $vgpr16_vgpr17
	s_waitcnt vmcnt(0) lgkmcnt(0)
	v_add_co_u32 v4, vcc_lo, v4, 3
	v_add_co_ci_u32_e64 v49, null, 0, v5, vcc_lo
	v_and_b32_e32 v48, -4, v4
	v_cmpx_ne_u32_e32 0, v14
	s_cbranch_execz .LBB4_36
; %bb.35:
	flat_load_dwordx2 v[16:17], v[20:21] offset:560
	s_waitcnt vmcnt(0) lgkmcnt(0)
	s_waitcnt_vscnt null, 0x0
	flat_store_dwordx2 v[16:17], v[48:49]
.LBB4_36:
	s_or_b32 exec_lo, exec_lo, s5
	v_and_b32_e32 v18, 4, v87
	v_add_co_u32 v14, vcc_lo, 0x1f8, v20
	v_mov_b32_e32 v4, 0
	v_add_co_ci_u32_e64 v15, null, 0, v21, vcc_lo
	v_mov_b32_e32 v5, 0
	v_cmp_ne_u32_e32 vcc_lo, 0, v18
                                        ; implicit-def: $vgpr96
                                        ; implicit-def: $vgpr22_vgpr23
                                        ; implicit-def: $vgpr18_vgpr19
	s_and_saveexec_b32 s5, vcc_lo
	s_cbranch_execz .LBB4_40
; %bb.37:
	v_and_b32_e32 v4, 0x800, v87
	s_mov_b32 s6, exec_lo
	v_cmpx_eq_u32_e32 0, v4
	s_cbranch_execz .LBB4_39
; %bb.38:
	s_trap 2
	ds_write_b64 v0, v[14:15]
.LBB4_39:
	s_or_b32 exec_lo, exec_lo, s6
	flat_load_dwordx2 v[16:17], v[20:21] offset:552
	s_waitcnt vmcnt(0) lgkmcnt(0)
	flat_load_dwordx2 v[22:23], v[16:17] glc dlc
	s_clause 0x2
	flat_load_dwordx2 v[4:5], v[20:21] offset:600
	flat_load_dword v96, v[20:21] offset:576
	flat_load_dwordx2 v[18:19], v[20:21] offset:520
	v_or_b32_e32 v20, 0x100, v87
	s_waitcnt vmcnt(2) lgkmcnt(2)
	v_cmp_eq_u64_e32 vcc_lo, 0, v[4:5]
	v_cndmask_b32_e32 v87, v20, v87, vcc_lo
.LBB4_40:
	s_or_b32 exec_lo, exec_lo, s5
.LBB4_41:
	s_or_b32 exec_lo, exec_lo, s4
	v_and_b32_e32 v20, 24, v87
	v_ashrrev_i32_e32 v53, 31, v53
	v_cmp_ne_u32_e32 vcc_lo, 0, v20
                                        ; implicit-def: $vgpr20_vgpr21
	s_and_saveexec_b32 s4, vcc_lo
	s_cbranch_execz .LBB4_49
; %bb.42:
	s_trap 2
	ds_read_b64 v[4:5], v0
	v_lshlrev_b64 v[6:7], 3, v[6:7]
	v_or_b32_e32 v20, 0x100, v87
	s_waitcnt lgkmcnt(0)
	v_add_co_u32 v4, vcc_lo, v4, v6
	v_add_co_ci_u32_e64 v5, null, v5, v7, vcc_lo
	flat_load_dwordx2 v[14:15], v[4:5]
	s_waitcnt vmcnt(0) lgkmcnt(0)
	flat_load_dwordx4 v[4:7], v[14:15] offset:96
	s_waitcnt vmcnt(0) lgkmcnt(0)
	v_cmp_eq_u64_e32 vcc_lo, 0, v[4:5]
	v_cndmask_b32_e32 v87, v20, v87, vcc_lo
	v_and_b32_e32 v20, 16, v87
	v_cmp_ne_u32_e32 vcc_lo, 0, v20
                                        ; implicit-def: $vgpr20_vgpr21
	s_and_saveexec_b32 s5, vcc_lo
	s_cbranch_execz .LBB4_44
; %bb.43:
	s_clause 0x2
	flat_load_dwordx2 v[16:17], v[14:15] offset:48
	flat_load_dwordx2 v[20:21], v[14:15] offset:120
	;; [unrolled: 1-line block ×3, first 2 shown]
.LBB4_44:
	s_or_b32 exec_lo, exec_lo, s5
	v_add_co_u32 v6, vcc_lo, v6, 3
	v_and_b32_e32 v25, 8, v87
	v_add_co_ci_u32_e64 v49, null, 0, v7, vcc_lo
	v_and_b32_e32 v48, -4, v6
	s_mov_b32 s5, exec_lo
	v_cmpx_ne_u32_e32 0, v25
	s_cbranch_execz .LBB4_48
; %bb.45:
	v_and_b32_e32 v6, 0x800, v87
	s_mov_b32 s6, exec_lo
	v_cmpx_eq_u32_e32 0, v6
	s_cbranch_execz .LBB4_47
; %bb.46:
	s_trap 2
	ds_write_b64 v0, v[14:15]
.LBB4_47:
	s_or_b32 exec_lo, exec_lo, s6
	s_waitcnt vmcnt(2) lgkmcnt(2)
	flat_load_dwordx2 v[16:17], v[14:15] offset:56
	s_waitcnt vmcnt(0) lgkmcnt(0)
	flat_load_dwordx2 v[22:23], v[16:17] glc dlc
	s_clause 0x1
	flat_load_dword v96, v[14:15] offset:72
	flat_load_dwordx2 v[18:19], v[14:15] offset:16
.LBB4_48:
	s_or_b32 exec_lo, exec_lo, s5
.LBB4_49:
	s_or_b32 exec_lo, exec_lo, s4
	v_cmp_eq_u32_e64 s4, 0, v0
	s_and_saveexec_b32 s5, s4
	s_cbranch_execz .LBB4_51
; %bb.50:
	s_waitcnt vmcnt(1)
	v_mov_b32_e32 v6, v10
	v_mov_b32_e32 v10, 0
	;; [unrolled: 1-line block ×4, first 2 shown]
	ds_write2_b64 v0, v[6:7], v[8:9] offset1:1
	s_trap 2
	ds_write_b64 v0, v[10:11]
.LBB4_51:
	s_or_b32 exec_lo, exec_lo, s5
	s_waitcnt vmcnt(1)
	v_mov_b32_e32 v10, 0
	v_mov_b32_e32 v11, 0
	v_cmp_ne_u32_e64 s5, 32, v1
	s_cmp_lt_i32 s18, -1
	s_mov_b32 s20, -1
	s_cbranch_scc1 .LBB4_615
; %bb.52:
	v_mul_lo_u32 v6, v26, v32
	v_ashrrev_i32_e32 v11, 31, v0
	s_abs_i32 s21, s18
	s_ashr_i32 s11, s10, 31
	v_cvt_f32_u32_e32 v55, s21
	v_mov_b32_e32 v26, 0
	v_lshrrev_b32_e32 v11, 27, v11
	v_lshrrev_b32_e32 v97, 5, v1
	v_sub_nc_u32_e32 v8, v33, v6
	v_mad_u64_u32 v[6:7], null, v38, v34, 0
	v_mul_lo_u32 v7, v29, v32
	v_add_nc_u32_e32 v11, v0, v11
	v_sub_nc_u32_e32 v9, v8, v32
	v_cmp_ge_u32_e32 vcc_lo, v8, v32
	s_lshr_b32 s6, s18, 31
	s_lshr_b32 s11, s11, 25
	v_sub_co_u32 v6, null, v27, v6
	v_cndmask_b32_e32 v8, v8, v9, vcc_lo
	v_add_nc_u32_e32 v9, 1, v29
	s_sub_i32 s16, 0, s21
	s_add_i32 s6, s18, s6
	s_add_i32 s10, s10, s11
	v_sub_nc_u32_e32 v10, v8, v32
	v_cmp_ge_u32_e32 vcc_lo, v8, v32
	v_cmp_ge_i32_e64 s14, v0, v1
	s_waitcnt lgkmcnt(1)
	v_cmp_eq_u64_e64 s12, 0, v[20:21]
	v_cmp_ne_u64_e64 s13, 0, v[20:21]
	v_and_b32_e32 v24, 0x3ffffe00, v24
	v_cndmask_b32_e32 v8, v8, v10, vcc_lo
	v_sub_nc_u32_e32 v10, v37, v7
	s_ashr_i32 s22, s6, 1
	v_mov_b32_e32 v25, v26
	v_lshlrev_b32_e32 v98, 11, v97
	v_xor_b32_e32 v7, v8, v35
	v_cmp_ge_u32_e32 vcc_lo, v10, v32
	v_lshlrev_b32_e32 v102, 9, v97
	v_and_b32_e32 v103, 0x1fe0, v1
	s_ashr_i32 s23, s10, 7
	v_sub_nc_u32_e32 v7, v7, v35
	v_cndmask_b32_e32 v28, v29, v9, vcc_lo
	v_sub_nc_u32_e32 v29, v10, v32
	v_ashrrev_i32_e32 v112, 31, v96
	v_cmp_eq_u32_e64 s10, 32, v1
	v_mad_u64_u32 v[8:9], null, v36, v32, v[7:8]
	v_cndmask_b32_e32 v9, v10, v29, vcc_lo
	v_add_nc_u32_e32 v10, 1, v28
	v_ashrrev_i32_e32 v7, 31, v6
	s_waitcnt vmcnt(0)
	v_cmp_ne_u32_sdwa s24, v1, v86 src0_sel:DWORD src1_sel:WORD_0
	v_mov_b32_e32 v115, 1
	v_cmp_ge_u32_e32 vcc_lo, v9, v32
	v_mov_b32_e32 v116, 0x88
	s_mov_b32 s17, 0
	s_xor_b32 s26, s14, -1
	s_trap 2
	v_cndmask_b32_e32 v9, v28, v10, vcc_lo
	v_cmp_lt_i32_e32 vcc_lo, v8, v6
	v_ashrrev_i32_e32 v28, 5, v11
	v_and_b32_e32 v11, 0xffffffe0, v11
	v_xor_b32_e32 v9, v9, v53
	v_cndmask_b32_e64 v10, 0, 1, vcc_lo
	v_sub_nc_u32_e32 v99, v0, v11
	v_sub_nc_u32_e32 v64, v9, v53
	v_add_co_u32 v27, vcc_lo, v38, v10
	v_add_co_ci_u32_e64 v29, null, 0, v39, vcc_lo
	v_min_i32_e32 v10, v8, v6
	v_mul_lo_u32 v35, v27, v51
	v_mad_u64_u32 v[32:33], null, v27, v50, 0
	v_mul_lo_u32 v34, v29, v50
	v_ashrrev_i32_e32 v9, 31, v8
	v_ashrrev_i32_e32 v11, 31, v10
	;; [unrolled: 1-line block ×3, first 2 shown]
	v_mul_lo_u32 v39, v39, v8
	v_ashrrev_i32_e32 v29, 31, v28
	v_mul_lo_u32 v65, v38, v9
	v_mad_u64_u32 v[10:11], null, v38, v8, v[10:11]
	v_add3_u32 v33, v33, v35, v34
	v_mul_lo_u32 v27, v32, v27
	v_mad_u64_u32 v[36:37], null, v32, v64, 0
	v_lshlrev_b32_e32 v34, 4, v99
	v_mul_lo_u32 v53, v33, v64
	v_add3_u32 v11, v39, v11, v65
	v_lshrrev_b32_e32 v66, 31, v33
	v_mul_lo_u32 v54, v10, v51
	v_lshl_add_u32 v100, v28, 11, v34
	v_mad_u64_u32 v[34:35], null, v10, v50, 0
	v_mul_lo_u32 v67, v11, v50
	v_add3_u32 v27, v37, v27, v53
	v_add_co_u32 v10, vcc_lo, v32, v66
	v_add_co_ci_u32_e64 v11, null, 0, v33, vcc_lo
	v_lshrrev_b32_e32 v37, 31, v27
	v_cmp_lt_i64_e64 s7, v[8:9], v[6:7]
	v_add3_u32 v35, v35, v54, v67
	v_ashrrev_i64 v[53:54], 1, v[10:11]
	v_cmp_gt_i32_e64 s6, 1, v99
	v_add_co_u32 v10, vcc_lo, v36, v37
	v_add_co_ci_u32_e64 v11, null, 0, v27, vcc_lo
	v_cndmask_b32_e64 v7, v7, v9, s7
	v_cndmask_b32_e64 v6, v6, v8, s7
	v_sub_co_u32 v27, vcc_lo, v32, v53
	v_ashrrev_i64 v[36:37], 1, v[10:11]
	v_rcp_iflag_f32_e32 v10, v55
	v_mad_u64_u32 v[6:7], null, v38, v8, v[6:7]
	v_sub_co_ci_u32_e64 v66, null, v33, v54, vcc_lo
	v_cmp_eq_u32_e32 vcc_lo, 0, v64
	v_and_b32_e32 v9, 31, v31
	v_ashrrev_i32_e32 v101, 31, v100
	v_cmp_lt_i32_e64 s11, v99, v52
	v_add3_u32 v7, v39, v7, v65
	v_mul_f32_e32 v8, 0x4f7ffffe, v10
	v_mad_u64_u32 v[38:39], null, v6, v50, 0
	v_mov_b32_e32 v10, 0
	v_mul_lo_u32 v7, v7, v50
	v_cvt_u32_f32_e32 v8, v8
	v_cmp_eq_u32_e64 s7, 0, v9
	v_mov_b32_e32 v11, 0
	v_cndmask_b32_e32 v113, v66, v54, vcc_lo
	v_cndmask_b32_e32 v114, v27, v53, vcc_lo
	v_readfirstlane_b32 s15, v8
	v_mul_lo_u32 v8, v6, v51
	s_mul_i32 s16, s16, s15
	s_mul_hi_u32 s16, s15, s16
	v_add3_u32 v39, v39, v8, v7
	s_add_i32 s25, s15, s16
	s_mov_b32 s16, s17
.LBB4_53:                               ; =>This Loop Header: Depth=1
                                        ;     Child Loop BB4_62 Depth 2
                                        ;     Child Loop BB4_69 Depth 2
                                        ;     Child Loop BB4_77 Depth 2
                                        ;     Child Loop BB4_82 Depth 2
                                        ;     Child Loop BB4_89 Depth 2
                                        ;       Child Loop BB4_93 Depth 3
                                        ;         Child Loop BB4_101 Depth 4
                                        ;         Child Loop BB4_125 Depth 4
	;; [unrolled: 1-line block ×8, first 2 shown]
                                        ;       Child Loop BB4_214 Depth 3
                                        ;         Child Loop BB4_220 Depth 4
                                        ;         Child Loop BB4_244 Depth 4
                                        ;       Child Loop BB4_265 Depth 3
                                        ;         Child Loop BB4_268 Depth 4
                                        ;           Child Loop BB4_276 Depth 5
                                        ;           Child Loop BB4_304 Depth 5
	;; [unrolled: 1-line block ×8, first 2 shown]
                                        ;         Child Loop BB4_393 Depth 4
                                        ;           Child Loop BB4_399 Depth 5
                                        ;           Child Loop BB4_427 Depth 5
                                        ;       Child Loop BB4_447 Depth 3
                                        ;         Child Loop BB4_455 Depth 4
                                        ;         Child Loop BB4_479 Depth 4
	;; [unrolled: 1-line block ×8, first 2 shown]
                                        ;       Child Loop BB4_566 Depth 3
                                        ;         Child Loop BB4_572 Depth 4
                                        ;         Child Loop BB4_596 Depth 4
	s_sub_i32 s14, s18, s16
	s_trap 2
	s_abs_i32 s15, s14
	ds_read_b64 v[6:7], v0
	s_mul_hi_u32 s27, s15, s25
	s_ashr_i32 s14, s14, 31
	s_mul_i32 s27, s27, s21
	s_sub_i32 s15, s15, s27
	s_sub_i32 s27, s15, s21
	s_cmp_ge_u32 s15, s21
	s_cselect_b32 s15, s27, s15
	s_sub_i32 s27, s15, s21
	s_cmp_ge_u32 s15, s21
	s_cselect_b32 s15, s27, s15
	s_lshl_b64 s[28:29], s[16:17], 2
	s_xor_b32 s15, s15, s14
	s_sub_i32 s14, s15, s14
	s_waitcnt lgkmcnt(0)
	v_add_co_u32 v8, vcc_lo, v6, s28
	s_ashr_i32 s15, s14, 31
	v_add_co_ci_u32_e64 v9, null, s29, v7, vcc_lo
	s_lshl_b64 s[14:15], s[14:15], 2
	s_cmp_lg_u32 s16, 0
	v_add_co_u32 v6, vcc_lo, v6, s14
	v_add_co_ci_u32_e64 v7, null, s15, v7, vcc_lo
	s_clause 0x1
	flat_load_dword v8, v[8:9]
	flat_load_dword v6, v[6:7]
	s_cselect_b32 s14, -1, 0
	s_waitcnt vmcnt(1) lgkmcnt(1)
	v_ashrrev_i32_e32 v7, 31, v8
	v_mul_lo_u32 v9, v85, v8
	v_mad_u64_u32 v[54:55], null, v30, v8, 0
	s_waitcnt vmcnt(0) lgkmcnt(0)
	v_cmp_eq_u32_e32 vcc_lo, v6, v8
	v_ashrrev_i32_e32 v8, 31, v6
	v_mul_lo_u32 v64, v85, v6
	v_mad_u64_u32 v[52:53], null, v30, v6, 0
	v_mul_lo_u32 v6, v30, v7
	v_mul_lo_u32 v7, v30, v8
	v_cndmask_b32_e32 v27, 0, v37, vcc_lo
	v_cndmask_b32_e32 v41, 0, v36, vcc_lo
	;; [unrolled: 1-line block ×4, first 2 shown]
	v_add3_u32 v55, v55, v6, v9
	v_add3_u32 v53, v53, v7, v64
	v_add_co_u32 v6, vcc_lo, v54, v34
	v_add_co_ci_u32_e64 v7, null, v55, v35, vcc_lo
	v_add_co_u32 v8, vcc_lo, v52, v34
	v_add_co_ci_u32_e64 v9, null, v53, v35, vcc_lo
	;; [unrolled: 2-line block ×4, first 2 shown]
	s_and_b32 vcc_lo, exec_lo, s14
	s_cbranch_vccz .LBB4_55
; %bb.54:                               ;   in Loop: Header=BB4_53 Depth=1
	s_and_saveexec_b32 s27, s14
	s_cbranch_execnz .LBB4_85
	s_branch .LBB4_613
.LBB4_55:                               ;   in Loop: Header=BB4_53 Depth=1
	flat_load_dwordx4 v[6:9], v[2:3] offset:16
	s_mov_b32 s14, -1
	s_mov_b32 s15, exec_lo
	s_waitcnt vmcnt(0) lgkmcnt(0)
	v_cmpx_ne_u64_e64 v[8:9], v[6:7]
	s_cbranch_execz .LBB4_84
; %bb.56:                               ;   in Loop: Header=BB4_53 Depth=1
	s_mov_b32 s27, 0
	s_and_saveexec_b32 s14, s6
; %bb.57:                               ;   in Loop: Header=BB4_53 Depth=1
	v_add_nc_u32_e32 v64, v8, v117
	v_add_nc_u32_e32 v65, v6, v119
	v_or_b32_e32 v64, v64, v65
	v_and_b32_e32 v64, 15, v64
	v_cmp_ne_u32_e32 vcc_lo, 0, v64
	s_and_b32 s27, vcc_lo, exec_lo
; %bb.58:                               ;   in Loop: Header=BB4_53 Depth=1
	s_or_b32 exec_lo, exec_lo, s14
	v_cndmask_b32_e64 v64, 0, 1, s27
	v_cmp_ne_u32_e32 vcc_lo, 0, v64
	s_cbranch_vccz .LBB4_60
; %bb.59:                               ;   in Loop: Header=BB4_53 Depth=1
	v_mov_b32_e32 v64, 0
	v_mov_b32_e32 v67, v51
	;; [unrolled: 1-line block ×8, first 2 shown]
	s_mov_b32 s14, -1
	s_and_saveexec_b32 s27, s14
	s_cbranch_execnz .LBB4_75
	s_branch .LBB4_83
.LBB4_60:                               ;   in Loop: Header=BB4_53 Depth=1
	v_ashrrev_i32_e32 v64, 31, v51
	s_mov_b32 s27, exec_lo
	v_lshrrev_b32_e32 v64, 21, v64
	v_add_co_u32 v64, vcc_lo, v50, v64
	v_add_co_ci_u32_e64 v65, null, 0, v51, vcc_lo
	v_ashrrev_i64 v[64:65], 11, v[64:65]
	v_sub_co_u32 v68, vcc_lo, v64, v28
	v_sub_co_ci_u32_e64 v69, null, v65, v29, vcc_lo
	v_cmpx_lt_i64_e32 0, v[68:69]
	s_cbranch_execz .LBB4_64
; %bb.61:                               ;   in Loop: Header=BB4_53 Depth=1
	v_add_co_u32 v66, vcc_lo, v38, v41
	v_add_co_ci_u32_e64 v67, null, v39, v27, vcc_lo
	s_mov_b32 s28, 0
	v_add_co_u32 v70, vcc_lo, v66, v8
	v_add_co_ci_u32_e64 v71, null, v67, v9, vcc_lo
	v_add_co_u32 v80, vcc_lo, v66, v6
	v_add_co_ci_u32_e64 v81, null, v67, v7, vcc_lo
	;; [unrolled: 2-line block ×4, first 2 shown]
	s_inst_prefetch 0x1
	.p2align	6
.LBB4_62:                               ;   Parent Loop BB4_53 Depth=1
                                        ; =>  This Inner Loop Header: Depth=2
	v_add_co_u32 v46, vcc_lo, v100, v66
	v_add_co_ci_u32_e64 v47, null, v101, v67, vcc_lo
	s_clause 0x3
	global_load_dwordx4 v[80:83], v[46:47], off slc
	global_load_dwordx4 v[42:45], v[46:47], off offset:512 slc
	global_load_dwordx4 v[56:59], v[46:47], off offset:1024 slc
	;; [unrolled: 1-line block ×3, first 2 shown]
	v_add_co_u32 v46, vcc_lo, v100, v70
	v_add_co_ci_u32_e64 v47, null, v101, v71, vcc_lo
	v_sub_co_u32 v68, vcc_lo, v68, v97
	v_subrev_co_ci_u32_e64 v69, null, 0, v69, vcc_lo
	v_add_co_u32 v66, vcc_lo, v66, v98
	v_add_co_ci_u32_e64 v67, null, 0, v67, vcc_lo
	v_cmp_gt_i64_e32 vcc_lo, 1, v[68:69]
	v_add_co_u32 v70, s14, v70, v98
	v_add_co_ci_u32_e64 v71, null, 0, v71, s14
	s_waitcnt vmcnt(3)
	global_store_dwordx4 v[46:47], v[80:83], off glc slc
	s_waitcnt vmcnt(2)
	global_store_dwordx4 v[46:47], v[42:45], off offset:512 glc slc
	s_waitcnt vmcnt(1)
	global_store_dwordx4 v[46:47], v[56:59], off offset:1024 glc slc
	;; [unrolled: 2-line block ×3, first 2 shown]
	s_or_b32 s28, vcc_lo, s28
	s_andn2_b32 exec_lo, exec_lo, s28
	s_cbranch_execnz .LBB4_62
; %bb.63:                               ;   in Loop: Header=BB4_53 Depth=1
	s_inst_prefetch 0x2
	s_or_b32 exec_lo, exec_lo, s28
.LBB4_64:                               ;   in Loop: Header=BB4_53 Depth=1
	s_or_b32 exec_lo, exec_lo, s27
	v_lshlrev_b64 v[69:70], 11, v[64:65]
	v_mov_b32_e32 v64, 0
	v_mov_b32_e32 v65, 0
	s_mov_b32 s14, 0
	s_mov_b32 s27, exec_lo
                                        ; implicit-def: $vgpr66_vgpr67
                                        ; implicit-def: $vgpr42
                                        ; implicit-def: $vgpr80
                                        ; implicit-def: $vgpr83_vgpr84
	v_cmpx_ne_u64_e64 v[50:51], v[69:70]
	s_cbranch_execz .LBB4_74
; %bb.65:                               ;   in Loop: Header=BB4_53 Depth=1
	v_sub_co_u32 v71, vcc_lo, v50, v69
	v_sub_co_ci_u32_e64 v80, null, v51, v70, vcc_lo
	v_ashrrev_i32_e32 v64, 31, v80
	v_lshrrev_b32_e32 v64, 23, v64
	v_add_co_u32 v64, vcc_lo, v71, v64
	v_add_co_ci_u32_e64 v65, null, 0, v80, vcc_lo
	v_and_b32_e32 v83, 0xfffffe00, v64
	v_ashrrev_i64 v[81:82], 9, v[64:65]
	v_sub_co_u32 v66, vcc_lo, v71, v83
	v_add_co_u32 v64, s14, v83, v69
	v_sub_co_ci_u32_e64 v67, null, v80, v65, vcc_lo
	v_add_co_ci_u32_e64 v65, null, v65, v70, s14
	s_mov_b32 s14, exec_lo
	v_cmpx_lt_i64_e32 15, v[66:67]
	s_cbranch_execz .LBB4_67
; %bb.66:                               ;   in Loop: Header=BB4_53 Depth=1
	v_and_b32_e32 v83, 15, v50
	v_add_co_u32 v81, vcc_lo, v81, 1
	v_add_co_ci_u32_e64 v82, null, 0, v82, vcc_lo
	v_sub_co_u32 v66, vcc_lo, v66, v83
	v_subrev_co_ci_u32_e64 v67, null, 0, v67, vcc_lo
	v_mov_b32_e32 v84, v26
	v_add_co_u32 v64, vcc_lo, v66, v64
	v_add_co_ci_u32_e64 v65, null, v67, v65, vcc_lo
	v_mov_b32_e32 v66, v83
	v_mov_b32_e32 v67, v84
.LBB4_67:                               ;   in Loop: Header=BB4_53 Depth=1
	s_or_b32 exec_lo, exec_lo, s14
	v_lshlrev_b32_e32 v68, 5, v68
	s_mov_b32 s28, exec_lo
	v_sub_nc_u32_e32 v68, v99, v68
	v_ashrrev_i32_e32 v83, 31, v68
	v_lshrrev_b32_e32 v83, 27, v83
	v_add_nc_u32_e32 v83, v68, v83
	v_and_b32_e32 v84, 0xffffffe0, v83
	v_ashrrev_i32_e32 v44, 5, v83
	v_sub_nc_u32_e32 v68, v68, v84
	v_sub_co_u32 v81, s14, v81, v44
	v_lshlrev_b32_e32 v83, 4, v68
	v_lshl_add_u32 v42, v44, 9, v83
	v_ashrrev_i32_e32 v43, 31, v42
	v_sub_co_u32 v83, vcc_lo, v71, v42
	v_ashrrev_i32_e32 v71, 31, v44
	v_sub_co_ci_u32_e64 v84, null, v80, v43, vcc_lo
	v_sub_co_ci_u32_e64 v82, null, v82, v71, s14
	v_cmpx_lt_i64_e32 15, v[83:84]
	s_cbranch_execz .LBB4_71
; %bb.68:                               ;   in Loop: Header=BB4_53 Depth=1
	v_add_co_u32 v71, vcc_lo, v34, v41
	v_add_co_ci_u32_e64 v80, null, v35, v27, vcc_lo
	s_mov_b32 s29, 0
	v_add_co_u32 v71, vcc_lo, v71, v69
	v_add_co_ci_u32_e64 v80, null, v80, v70, vcc_lo
	v_add_co_u32 v69, vcc_lo, v8, v54
	v_add_co_ci_u32_e64 v70, null, v9, v55, vcc_lo
	;; [unrolled: 2-line block ×4, first 2 shown]
	.p2align	6
.LBB4_69:                               ;   Parent Loop BB4_53 Depth=1
                                        ; =>  This Inner Loop Header: Depth=2
	v_add_co_u32 v44, vcc_lo, v69, v71
	v_add_co_ci_u32_e64 v45, null, v70, v80, vcc_lo
	v_add_co_u32 v56, vcc_lo, v42, v71
	v_add_co_ci_u32_e64 v57, null, v43, v80, vcc_lo
	global_load_dwordx4 v[44:47], v[44:45], off slc
	v_sub_co_u32 v83, vcc_lo, v83, v102
	v_subrev_co_ci_u32_e64 v84, null, 0, v84, vcc_lo
	v_sub_co_u32 v81, vcc_lo, v81, v97
	v_subrev_co_ci_u32_e64 v82, null, 0, v82, vcc_lo
	v_cmp_gt_i64_e32 vcc_lo, 16, v[83:84]
	v_add_co_u32 v71, s14, v71, v102
	v_add_co_ci_u32_e64 v80, null, 0, v80, s14
	s_or_b32 s29, vcc_lo, s29
	s_waitcnt vmcnt(0)
	global_store_dwordx4 v[56:57], v[44:47], off glc slc
	s_andn2_b32 exec_lo, exec_lo, s29
	s_cbranch_execnz .LBB4_69
; %bb.70:                               ;   in Loop: Header=BB4_53 Depth=1
	s_or_b32 exec_lo, exec_lo, s29
.LBB4_71:                               ;   in Loop: Header=BB4_53 Depth=1
	s_or_b32 exec_lo, exec_lo, s28
	s_mov_b32 s14, 0
	s_mov_b32 s28, exec_lo
                                        ; implicit-def: $vgpr42
                                        ; implicit-def: $vgpr80
                                        ; implicit-def: $vgpr83_vgpr84
	v_cmpx_ne_u64_e32 0, v[66:67]
	s_cbranch_execz .LBB4_73
; %bb.72:                               ;   in Loop: Header=BB4_53 Depth=1
	v_cmp_lt_i64_e32 vcc_lo, 0, v[81:82]
	s_mov_b32 s14, exec_lo
	v_cndmask_b32_e32 v69, 0, v97, vcc_lo
	v_sub_nc_u32_e32 v69, v69, v81
	v_lshl_add_u32 v42, v69, 5, v68
	v_ashrrev_i32_e32 v68, 31, v42
	v_lshrrev_b32_e32 v68, 27, v68
	v_add_nc_u32_e32 v68, v42, v68
	v_ashrrev_i32_e32 v80, 5, v68
	v_ashrrev_i32_e32 v81, 31, v80
	v_mov_b32_e32 v84, v81
	v_mov_b32_e32 v83, v80
.LBB4_73:                               ;   in Loop: Header=BB4_53 Depth=1
	s_or_b32 exec_lo, exec_lo, s28
	s_and_b32 s14, s14, exec_lo
.LBB4_74:                               ;   in Loop: Header=BB4_53 Depth=1
	s_or_b32 exec_lo, exec_lo, s27
	s_and_saveexec_b32 s27, s14
	s_cbranch_execz .LBB4_83
.LBB4_75:                               ;   in Loop: Header=BB4_53 Depth=1
	v_ashrrev_i32_e32 v68, 31, v67
	v_ashrrev_i32_e32 v81, 31, v42
	s_mov_b32 s14, exec_lo
	v_lshrrev_b32_e32 v68, 23, v68
	v_lshrrev_b32_e32 v81, 27, v81
	v_add_co_u32 v68, vcc_lo, v66, v68
	v_add_co_ci_u32_e64 v69, null, 0, v67, vcc_lo
	v_ashrrev_i64 v[70:71], 9, v[68:69]
	v_sub_co_u32 v68, vcc_lo, v70, v83
	v_sub_co_ci_u32_e64 v69, null, v71, v84, vcc_lo
	v_cmpx_lt_i64_e32 0, v[68:69]
	s_cbranch_execz .LBB4_79
; %bb.76:                               ;   in Loop: Header=BB4_53 Depth=1
	v_add_nc_u32_e32 v82, v42, v81
	v_add_co_u32 v83, vcc_lo, v34, v41
	v_add_co_ci_u32_e64 v84, null, v35, v27, vcc_lo
	v_and_b32_e32 v82, 0xffffffe0, v82
	v_add_co_u32 v83, vcc_lo, v83, v64
	v_add_co_ci_u32_e64 v84, null, v84, v65, vcc_lo
	v_sub_nc_u32_e32 v82, v42, v82
	v_add_co_u32 v43, vcc_lo, v83, v8
	v_add_co_ci_u32_e64 v44, null, v84, v9, vcc_lo
	v_add_co_u32 v45, vcc_lo, v83, v6
	v_lshl_add_u32 v80, v80, 9, v82
	v_add_co_ci_u32_e64 v46, null, v84, v7, vcc_lo
	v_add_co_u32 v83, vcc_lo, v43, v54
	v_add_co_ci_u32_e64 v84, null, v44, v55, vcc_lo
	v_add_co_u32 v43, vcc_lo, v45, v52
	v_ashrrev_i32_e32 v82, 31, v80
	v_add_co_ci_u32_e64 v44, null, v46, v53, vcc_lo
	s_mov_b32 s28, 0
.LBB4_77:                               ;   Parent Loop BB4_53 Depth=1
                                        ; =>  This Inner Loop Header: Depth=2
	v_add_co_u32 v45, vcc_lo, v80, v83
	v_add_co_ci_u32_e64 v46, null, v82, v84, vcc_lo
	s_clause 0xf
	flat_load_ubyte v47, v[45:46] slc
	flat_load_ubyte v56, v[45:46] offset:32 slc
	flat_load_ubyte v57, v[45:46] offset:64 slc
	;; [unrolled: 1-line block ×15, first 2 shown]
	v_add_co_u32 v45, vcc_lo, v80, v43
	v_add_co_ci_u32_e64 v46, null, v82, v44, vcc_lo
	v_sub_co_u32 v68, vcc_lo, v68, v97
	v_subrev_co_ci_u32_e64 v69, null, 0, v69, vcc_lo
	v_add_co_u32 v83, vcc_lo, v83, v102
	v_add_co_ci_u32_e64 v84, null, 0, v84, vcc_lo
	v_add_co_u32 v43, vcc_lo, v43, v102
	v_add_co_ci_u32_e64 v44, null, 0, v44, vcc_lo
	v_cmp_gt_i64_e32 vcc_lo, 1, v[68:69]
	s_waitcnt vmcnt(15) lgkmcnt(15)
	flat_store_byte v[45:46], v47 glc slc
	s_waitcnt vmcnt(14) lgkmcnt(15)
	flat_store_byte v[45:46], v56 offset:32 glc slc
	s_waitcnt vmcnt(13) lgkmcnt(15)
	flat_store_byte v[45:46], v57 offset:64 glc slc
	;; [unrolled: 2-line block ×15, first 2 shown]
	s_or_b32 s28, vcc_lo, s28
	s_andn2_b32 exec_lo, exec_lo, s28
	s_cbranch_execnz .LBB4_77
; %bb.78:                               ;   in Loop: Header=BB4_53 Depth=1
	s_or_b32 exec_lo, exec_lo, s28
.LBB4_79:                               ;   in Loop: Header=BB4_53 Depth=1
	s_or_b32 exec_lo, exec_lo, s14
	v_lshlrev_b64 v[69:70], 9, v[70:71]
	v_cmp_ne_u64_e32 vcc_lo, v[66:67], v[69:70]
	s_and_b32 exec_lo, exec_lo, vcc_lo
	s_cbranch_execz .LBB4_83
; %bb.80:                               ;   in Loop: Header=BB4_53 Depth=1
	v_add_nc_u32_e32 v71, v42, v81
	v_lshlrev_b32_e32 v68, 5, v68
	v_and_b32_e32 v71, 0xffffffe0, v71
	v_sub_nc_u32_e32 v71, v42, v71
	v_sub_nc_u32_e32 v68, v71, v68
	v_ashrrev_i32_e32 v71, 31, v68
	v_add_co_u32 v80, vcc_lo, v69, v68
	v_add_co_ci_u32_e64 v81, null, v70, v71, vcc_lo
	v_sub_co_u32 v66, vcc_lo, v66, v80
	v_sub_co_ci_u32_e64 v67, null, v67, v81, vcc_lo
	v_cmp_lt_i64_e32 vcc_lo, 0, v[66:67]
	s_and_b32 exec_lo, exec_lo, vcc_lo
	s_cbranch_execz .LBB4_83
; %bb.81:                               ;   in Loop: Header=BB4_53 Depth=1
	v_add_co_u32 v80, vcc_lo, v34, v41
	v_add_co_ci_u32_e64 v27, null, v35, v27, vcc_lo
	s_mov_b32 s28, 0
	v_add_co_u32 v64, vcc_lo, v80, v64
	v_add_co_ci_u32_e64 v27, null, v27, v65, vcc_lo
	v_add_co_u32 v64, vcc_lo, v64, v69
	v_add_co_ci_u32_e64 v65, null, v27, v70, vcc_lo
	;; [unrolled: 2-line block ×5, first 2 shown]
	.p2align	6
.LBB4_82:                               ;   Parent Loop BB4_53 Depth=1
                                        ; =>  This Inner Loop Header: Depth=2
	v_add_co_u32 v52, vcc_lo, v8, v27
	v_add_co_ci_u32_e64 v53, null, v9, v54, vcc_lo
	v_sub_co_u32 v66, vcc_lo, v66, v103
	v_subrev_co_ci_u32_e64 v67, null, 0, v67, vcc_lo
	flat_load_ubyte v55, v[52:53] slc
	v_add_co_u32 v52, vcc_lo, v6, v27
	v_add_co_ci_u32_e64 v53, null, v7, v54, vcc_lo
	v_cmp_gt_i64_e32 vcc_lo, 1, v[66:67]
	v_add_co_u32 v27, s14, v27, v103
	v_add_co_ci_u32_e64 v54, null, 0, v54, s14
	s_or_b32 s28, vcc_lo, s28
	s_waitcnt vmcnt(0) lgkmcnt(0)
	flat_store_byte v[52:53], v55 glc slc
	s_andn2_b32 exec_lo, exec_lo, s28
	s_cbranch_execnz .LBB4_82
.LBB4_83:                               ;   in Loop: Header=BB4_53 Depth=1
	s_or_b32 exec_lo, exec_lo, s27
	s_xor_b32 s14, exec_lo, -1
.LBB4_84:                               ;   in Loop: Header=BB4_53 Depth=1
	s_or_b32 exec_lo, exec_lo, s15
	s_and_saveexec_b32 s27, s14
	s_cbranch_execz .LBB4_613
.LBB4_85:                               ;   in Loop: Header=BB4_53 Depth=1
	s_mov_b32 s28, exec_lo
	v_cmpx_lt_i64_e32 0, v[50:51]
	s_cbranch_execz .LBB4_612
; %bb.86:                               ;   in Loop: Header=BB4_53 Depth=1
	v_mov_b32_e32 v6, 0
	v_mov_b32_e32 v7, 0
	s_cmp_gt_u32 s16, 1
	s_mov_b32 s29, 0
	s_cselect_b32 s40, -1, 0
	s_branch .LBB4_89
.LBB4_87:                               ;   in Loop: Header=BB4_89 Depth=2
	s_or_b32 exec_lo, exec_lo, s41
.LBB4_88:                               ;   in Loop: Header=BB4_89 Depth=2
	s_or_b32 exec_lo, exec_lo, s15
	v_add_co_u32 v6, vcc_lo, v6, v24
	v_add_co_ci_u32_e64 v7, null, 0, v7, vcc_lo
	v_cmp_ge_i64_e32 vcc_lo, v[6:7], v[50:51]
	s_or_b32 s29, vcc_lo, s29
	s_andn2_b32 exec_lo, exec_lo, s29
	s_cbranch_execz .LBB4_611
.LBB4_89:                               ;   Parent Loop BB4_53 Depth=1
                                        ; =>  This Loop Header: Depth=2
                                        ;       Child Loop BB4_93 Depth 3
                                        ;         Child Loop BB4_101 Depth 4
                                        ;         Child Loop BB4_125 Depth 4
	;; [unrolled: 1-line block ×8, first 2 shown]
                                        ;       Child Loop BB4_214 Depth 3
                                        ;         Child Loop BB4_220 Depth 4
                                        ;         Child Loop BB4_244 Depth 4
                                        ;       Child Loop BB4_265 Depth 3
                                        ;         Child Loop BB4_268 Depth 4
                                        ;           Child Loop BB4_276 Depth 5
                                        ;           Child Loop BB4_304 Depth 5
	;; [unrolled: 1-line block ×8, first 2 shown]
                                        ;         Child Loop BB4_393 Depth 4
                                        ;           Child Loop BB4_399 Depth 5
                                        ;           Child Loop BB4_427 Depth 5
                                        ;       Child Loop BB4_447 Depth 3
                                        ;         Child Loop BB4_455 Depth 4
                                        ;         Child Loop BB4_479 Depth 4
	;; [unrolled: 1-line block ×8, first 2 shown]
                                        ;       Child Loop BB4_566 Depth 3
                                        ;         Child Loop BB4_572 Depth 4
                                        ;         Child Loop BB4_596 Depth 4
	v_sub_co_u32 v8, vcc_lo, v50, v6
	v_sub_co_ci_u32_e64 v9, null, v51, v7, vcc_lo
	v_cmp_lt_i64_e32 vcc_lo, v[24:25], v[8:9]
	v_cndmask_b32_e32 v8, v8, v24, vcc_lo
	v_cndmask_b32_e64 v9, v9, 0, vcc_lo
	v_add_nc_u32_e32 v27, 31, v8
	v_cmp_ne_u64_e32 vcc_lo, 0, v[8:9]
	v_mov_b32_e32 v9, 0
	v_lshrrev_b32_e32 v27, 1, v27
	s_and_b32 s41, s26, vcc_lo
	v_and_b32_e32 v52, 0x3ffffff0, v27
	v_mov_b32_e32 v27, 0
	v_max_i32_e32 v52, s23, v52
	s_and_saveexec_b32 s42, s41
	s_cbranch_execz .LBB4_210
; %bb.90:                               ;   in Loop: Header=BB4_89 Depth=2
	v_mov_b32_e32 v9, 0
	s_mov_b32 s45, 1
	s_mov_b32 s44, -1
	s_mov_b32 s43, 0
	s_branch .LBB4_93
.LBB4_91:                               ;   in Loop: Header=BB4_93 Depth=3
	s_or_b32 exec_lo, exec_lo, s15
	v_add_co_u32 v48, vcc_lo, v48, 2
	v_add_co_ci_u32_e64 v49, null, 0, v49, vcc_lo
	s_waitcnt vmcnt(0) lgkmcnt(0)
	s_waitcnt_vscnt null, 0x0
	flat_store_dwordx2 v[16:17], v[48:49]
.LBB4_92:                               ;   in Loop: Header=BB4_93 Depth=3
	s_or_b32 exec_lo, exec_lo, s14
	v_add_nc_u32_e32 v9, v52, v9
	s_xor_b32 s14, s44, -1
	v_mov_b32_e32 v27, s45
	s_mov_b32 s44, 0
	s_mov_b32 s45, 2
	v_cmp_ge_i32_e32 vcc_lo, v9, v8
	s_or_b32 s14, s14, vcc_lo
	s_and_b32 s14, exec_lo, s14
	s_or_b32 s43, s14, s43
	s_andn2_b32 exec_lo, exec_lo, s43
	s_cbranch_execz .LBB4_209
.LBB4_93:                               ;   Parent Loop BB4_53 Depth=1
                                        ;     Parent Loop BB4_89 Depth=2
                                        ; =>    This Loop Header: Depth=3
                                        ;         Child Loop BB4_101 Depth 4
                                        ;         Child Loop BB4_125 Depth 4
	;; [unrolled: 1-line block ×8, first 2 shown]
	s_and_saveexec_b32 s14, s4
	s_cbranch_execz .LBB4_95
; %bb.94:                               ;   in Loop: Header=BB4_93 Depth=3
	s_trap 2
	ds_read_b64 v[53:54], v0
	s_waitcnt lgkmcnt(0)
	v_add_co_u32 v27, vcc_lo, v53, v117
	v_add_co_ci_u32_e64 v53, null, v54, v118, vcc_lo
	v_ashrrev_i32_e32 v54, 31, v9
	v_add_co_u32 v27, vcc_lo, v27, v6
	v_add_co_ci_u32_e64 v55, null, v53, v7, vcc_lo
	v_add_co_u32 v53, vcc_lo, v27, v9
	v_add_co_ci_u32_e64 v54, null, v55, v54, vcc_lo
	v_mov_b32_e32 v27, v26
	ds_write_b64 v0, v[53:54]
	ds_write_b64 v0, v[26:27]
.LBB4_95:                               ;   in Loop: Header=BB4_93 Depth=3
	s_or_b32 exec_lo, exec_lo, s14
	v_sub_nc_u32_e32 v27, v8, v9
	v_and_b32_e32 v53, 8, v87
	s_mov_b32 s15, exec_lo
	v_min_i32_e32 v52, v52, v27
	v_cmpx_ne_u32_e32 0, v53
	s_cbranch_execz .LBB4_117
; %bb.96:                               ;   in Loop: Header=BB4_93 Depth=3
	s_waitcnt vmcnt(0)
	v_add_co_u32 v64, vcc_lo, v22, 8
	v_add_co_ci_u32_e64 v65, null, 0, v23, vcc_lo
	v_add_co_u32 v54, vcc_lo, v48, 2
	v_add_co_ci_u32_e64 v55, null, 0, v49, vcc_lo
	s_mov_b32 s46, exec_lo
	v_cmpx_lt_u64_e64 v[64:65], v[54:55]
	s_cbranch_execz .LBB4_108
; %bb.97:                               ;   in Loop: Header=BB4_93 Depth=3
	v_and_b32_e32 v22, 64, v87
	s_mov_b32 s47, 0
	s_mov_b32 s59, 0
                                        ; implicit-def: $sgpr56
                                        ; implicit-def: $sgpr57
                                        ; implicit-def: $sgpr58
	v_cmp_eq_u32_e32 vcc_lo, 0, v22
	s_branch .LBB4_101
.LBB4_98:                               ;   in Loop: Header=BB4_101 Depth=4
	s_waitcnt vmcnt(0) lgkmcnt(0)
	v_add_co_u32 v64, s14, v22, 8
	v_add_co_ci_u32_e64 v65, null, 0, v23, s14
	s_or_b32 s62, s62, exec_lo
	v_cmp_ge_u64_e64 s14, v[64:65], v[54:55]
	s_orn2_b32 s61, s14, exec_lo
.LBB4_99:                               ;   in Loop: Header=BB4_101 Depth=4
	s_or_b32 exec_lo, exec_lo, s72
	s_andn2_b32 s14, s58, exec_lo
	s_and_b32 s58, s62, exec_lo
	s_andn2_b32 s57, s57, exec_lo
	s_and_b32 s61, s61, exec_lo
	s_or_b32 s58, s14, s58
	s_or_b32 s57, s57, s61
.LBB4_100:                              ;   in Loop: Header=BB4_101 Depth=4
	s_or_b32 exec_lo, exec_lo, s60
	s_and_b32 s14, exec_lo, s57
	s_or_b32 s47, s14, s47
	s_andn2_b32 s14, s56, exec_lo
	s_and_b32 s56, s58, exec_lo
	s_or_b32 s56, s14, s56
	s_andn2_b32 exec_lo, exec_lo, s47
	s_cbranch_execz .LBB4_105
.LBB4_101:                              ;   Parent Loop BB4_53 Depth=1
                                        ;     Parent Loop BB4_89 Depth=2
                                        ;       Parent Loop BB4_93 Depth=3
                                        ; =>      This Inner Loop Header: Depth=4
	s_sleep 1
	s_waitcnt vmcnt(0) lgkmcnt(0)
	flat_load_dwordx2 v[22:23], v[16:17] glc dlc
	s_or_b32 s58, s58, exec_lo
	s_or_b32 s57, s57, exec_lo
                                        ; implicit-def: $vgpr27
	s_and_saveexec_b32 s60, vcc_lo
	s_cbranch_execz .LBB4_100
; %bb.102:                              ;   in Loop: Header=BB4_101 Depth=4
	s_cmpk_lt_i32 s59, 0x270f
	s_mov_b32 s61, -1
	s_cselect_b32 s63, -1, 0
	s_cmpk_gt_i32 s59, 0x270e
	s_cbranch_scc0 .LBB4_104
; %bb.103:                              ;   in Loop: Header=BB4_101 Depth=4
	s_trap 2
	ds_read_b64 v[64:65], v0
	s_andn2_b32 s59, s63, exec_lo
	s_mov_b32 s62, 0
	s_waitcnt vmcnt(0) lgkmcnt(0)
	s_waitcnt_vscnt null, 0x0
	flat_load_dword v27, v[64:65] glc dlc
	s_waitcnt vmcnt(0) lgkmcnt(0)
	buffer_gl1_inv
	buffer_gl0_inv
	v_cmp_eq_u32_e64 s14, 0, v27
	s_and_b32 s14, s14, exec_lo
	s_or_b32 s63, s59, s14
	s_mov_b32 s59, 0
	s_and_saveexec_b32 s72, s63
	s_cbranch_execz .LBB4_99
	s_branch .LBB4_98
.LBB4_104:                              ;   in Loop: Header=BB4_101 Depth=4
	s_add_i32 s59, s59, 1
	s_mov_b32 s62, -1
                                        ; implicit-def: $vgpr27
	s_and_saveexec_b32 s72, s63
	s_cbranch_execz .LBB4_99
	s_branch .LBB4_98
.LBB4_105:                              ;   in Loop: Header=BB4_93 Depth=3
	s_or_b32 exec_lo, exec_lo, s47
	s_xor_b32 s14, s56, -1
	s_and_saveexec_b32 s47, s14
	s_xor_b32 s14, exec_lo, s47
	s_cbranch_execz .LBB4_107
; %bb.106:                              ;   in Loop: Header=BB4_93 Depth=3
	v_or_b32_e32 v87, 64, v87
	s_waitcnt vmcnt(0) lgkmcnt(0)
	s_waitcnt_vscnt null, 0x0
	ds_write_b32 v0, v27
	s_trap 2
.LBB4_107:                              ;   in Loop: Header=BB4_93 Depth=3
	s_or_b32 exec_lo, exec_lo, s14
.LBB4_108:                              ;   in Loop: Header=BB4_93 Depth=3
	s_or_b32 exec_lo, exec_lo, s46
	v_and_b32_e32 v27, 0x100, v87
	s_mov_b32 s14, -1
	;;#ASMSTART
	s_wakeup
	;;#ASMEND
	v_cmp_ne_u32_e32 vcc_lo, 0, v27
	v_and_b32_e32 v27, 7, v48
                                        ; implicit-def: $vgpr48_vgpr49
	s_and_saveexec_b32 s46, vcc_lo
	s_cbranch_execz .LBB4_112
; %bb.109:                              ;   in Loop: Header=BB4_93 Depth=3
	v_mad_u64_u32 v[64:65], null, v27, 24, v[4:5]
	v_ashrrev_i32_e32 v53, 31, v52
	flat_load_dword v48, v[64:65]
	flat_store_dwordx2 v[64:65], v[52:53] offset:8
	s_waitcnt vmcnt(0) lgkmcnt(1)
	v_cmp_eq_u32_e64 s14, 1, v48
	v_cmp_ne_u32_e32 vcc_lo, 1, v48
                                        ; implicit-def: $vgpr48_vgpr49
	s_and_saveexec_b32 s47, s14
	s_cbranch_execz .LBB4_111
; %bb.110:                              ;   in Loop: Header=BB4_93 Depth=3
	flat_load_dword v48, v[64:65] offset:4 glc dlc
	s_waitcnt vmcnt(0) lgkmcnt(0)
	v_ashrrev_i32_e32 v49, 31, v48
.LBB4_111:                              ;   in Loop: Header=BB4_93 Depth=3
	s_or_b32 exec_lo, exec_lo, s47
	s_orn2_b32 s14, vcc_lo, exec_lo
.LBB4_112:                              ;   in Loop: Header=BB4_93 Depth=3
	s_or_b32 exec_lo, exec_lo, s46
	s_and_saveexec_b32 s46, s14
; %bb.113:                              ;   in Loop: Header=BB4_93 Depth=3
	v_mad_i64_i32 v[48:49], null, v27, v96, 0
; %bb.114:                              ;   in Loop: Header=BB4_93 Depth=3
	s_or_b32 exec_lo, exec_lo, s46
	v_add_co_u32 v48, vcc_lo, v18, v48
	v_and_b32_e32 v27, 0x2000, v87
	v_add_co_ci_u32_e64 v49, null, v19, v49, vcc_lo
	s_mov_b32 s14, exec_lo
	ds_write_b64 v0, v[48:49] offset:784
	v_cmpx_ne_u32_e32 0, v27
	s_cbranch_execz .LBB4_116
; %bb.115:                              ;   in Loop: Header=BB4_93 Depth=3
	ds_read_b64 v[48:49], v0 offset:872
	s_waitcnt lgkmcnt(0)
	v_add_co_u32 v48, vcc_lo, v48, 1
	v_add_co_ci_u32_e64 v49, null, 0, v49, vcc_lo
	ds_write_b64 v0, v[48:49] offset:872
.LBB4_116:                              ;   in Loop: Header=BB4_93 Depth=3
	s_or_b32 exec_lo, exec_lo, s14
	v_mov_b32_e32 v48, v54
	v_mov_b32_e32 v49, v55
.LBB4_117:                              ;   in Loop: Header=BB4_93 Depth=3
	s_or_b32 exec_lo, exec_lo, s15
	s_and_saveexec_b32 s14, s5
	s_cbranch_execz .LBB4_136
; %bb.118:                              ;   in Loop: Header=BB4_93 Depth=3
	s_and_saveexec_b32 s15, s24
	s_xor_b32 s15, exec_lo, s15
	s_cbranch_execz .LBB4_133
; %bb.119:                              ;   in Loop: Header=BB4_93 Depth=3
	s_and_saveexec_b32 s46, s7
	s_cbranch_execz .LBB4_132
; %bb.120:                              ;   in Loop: Header=BB4_93 Depth=3
	s_mov_b32 s56, exec_lo
	s_mov_b32 s47, exec_lo
	v_mbcnt_lo_u32_b32 v27, s56, 0
	s_waitcnt vmcnt(0) lgkmcnt(0)
	s_waitcnt_vscnt null, 0x0
	buffer_gl1_inv
	buffer_gl0_inv
	v_cmpx_eq_u32_e32 0, v27
	s_cbranch_execz .LBB4_122
; %bb.121:                              ;   in Loop: Header=BB4_93 Depth=3
	s_bcnt1_i32_b32 s56, s56
	v_mov_b32_e32 v54, v26
	v_mov_b32_e32 v53, s56
	ds_add_u64 v0, v[53:54]
	s_trap 2
.LBB4_122:                              ;   in Loop: Header=BB4_93 Depth=3
	s_or_b32 exec_lo, exec_lo, s47
	s_trap 2
	ds_read_b64 v[53:54], v0
	s_waitcnt lgkmcnt(0)
	buffer_gl0_inv
	v_add_co_u32 v10, vcc_lo, v10, v97
	v_add_co_ci_u32_e64 v11, null, 0, v11, vcc_lo
	s_mov_b32 s47, exec_lo
	v_cmpx_lt_u64_e64 v[53:54], v[10:11]
	s_cbranch_execz .LBB4_131
; %bb.123:                              ;   in Loop: Header=BB4_93 Depth=3
	s_mov_b32 s56, 0
	s_mov_b32 s59, 0
                                        ; implicit-def: $sgpr57
                                        ; implicit-def: $sgpr58
	s_inst_prefetch 0x1
	s_branch .LBB4_125
	.p2align	6
.LBB4_124:                              ;   in Loop: Header=BB4_125 Depth=4
	s_or_b32 exec_lo, exec_lo, s61
	s_and_b32 s60, exec_lo, s62
	s_or_b32 s56, s60, s56
	s_andn2_b32 s57, s57, exec_lo
	s_and_b32 s60, s58, exec_lo
	s_or_b32 s57, s57, s60
	s_andn2_b32 exec_lo, exec_lo, s56
	s_cbranch_execz .LBB4_129
.LBB4_125:                              ;   Parent Loop BB4_53 Depth=1
                                        ;     Parent Loop BB4_89 Depth=2
                                        ;       Parent Loop BB4_93 Depth=3
                                        ; =>      This Inner Loop Header: Depth=4
	s_add_i32 s59, s59, 1
	s_cmpk_lg_i32 s59, 0x2710
	s_cselect_b32 s60, -1, 0
	s_and_b32 vcc_lo, exec_lo, s60
	s_cbranch_vccz .LBB4_127
; %bb.126:                              ;   in Loop: Header=BB4_125 Depth=4
	s_mov_b32 s62, -1
	s_or_b32 s58, s58, exec_lo
	s_and_saveexec_b32 s61, s60
	s_cbranch_execz .LBB4_124
	s_branch .LBB4_128
	.p2align	6
.LBB4_127:                              ;   in Loop: Header=BB4_125 Depth=4
	s_trap 2
	ds_read_b64 v[53:54], v0
	s_andn2_b32 s60, s60, exec_lo
	s_mov_b32 s59, 0
	s_waitcnt lgkmcnt(0)
	flat_load_dword v27, v[53:54] glc dlc
	s_waitcnt vmcnt(0) lgkmcnt(0)
	buffer_gl1_inv
	buffer_gl0_inv
	v_cmp_eq_u32_e32 vcc_lo, 0, v27
	s_and_b32 s61, vcc_lo, exec_lo
	s_or_b32 s60, s60, s61
	s_mov_b32 s62, -1
	s_or_b32 s58, s58, exec_lo
	s_and_saveexec_b32 s61, s60
	s_cbranch_execz .LBB4_124
.LBB4_128:                              ;   in Loop: Header=BB4_125 Depth=4
	s_sleep 1
	s_trap 2
	ds_read_b64 v[53:54], v0
	s_waitcnt lgkmcnt(0)
	buffer_gl0_inv
	s_andn2_b32 s58, s58, exec_lo
	v_cmp_ge_u64_e32 vcc_lo, v[53:54], v[10:11]
	s_orn2_b32 s62, vcc_lo, exec_lo
	s_branch .LBB4_124
.LBB4_129:                              ;   in Loop: Header=BB4_93 Depth=3
	s_inst_prefetch 0x2
	s_or_b32 exec_lo, exec_lo, s56
	s_and_saveexec_b32 s56, s57
	s_xor_b32 s56, exec_lo, s56
	s_cbranch_execz .LBB4_131
; %bb.130:                              ;   in Loop: Header=BB4_93 Depth=3
	ds_write_b32 v0, v115
	s_trap 2
.LBB4_131:                              ;   in Loop: Header=BB4_93 Depth=3
	s_or_b32 exec_lo, exec_lo, s47
	;;#ASMSTART
	s_wakeup
	;;#ASMEND
.LBB4_132:                              ;   in Loop: Header=BB4_93 Depth=3
	s_or_b32 exec_lo, exec_lo, s46
.LBB4_133:                              ;   in Loop: Header=BB4_93 Depth=3
	s_andn2_saveexec_b32 s15, s15
	s_cbranch_execz .LBB4_135
; %bb.134:                              ;   in Loop: Header=BB4_93 Depth=3
	s_waitcnt vmcnt(0) lgkmcnt(0)
	s_waitcnt_vscnt null, 0x0
	buffer_gl1_inv
	buffer_gl0_inv
	s_barrier
.LBB4_135:                              ;   in Loop: Header=BB4_93 Depth=3
	s_or_b32 exec_lo, exec_lo, s15
.LBB4_136:                              ;   in Loop: Header=BB4_93 Depth=3
	s_or_b32 exec_lo, exec_lo, s14
	s_trap 2
	ds_read_b32 v27, v0
	v_and_b32_e32 v53, 0x4000, v87
	s_xor_b32 s14, s10, -1
	v_cmp_ne_u32_e32 vcc_lo, 0, v53
	s_and_b32 s15, s14, vcc_lo
	s_and_saveexec_b32 s14, s15
	s_cbranch_execz .LBB4_155
; %bb.137:                              ;   in Loop: Header=BB4_93 Depth=3
	s_and_saveexec_b32 s15, s24
	s_xor_b32 s15, exec_lo, s15
	s_cbranch_execz .LBB4_152
; %bb.138:                              ;   in Loop: Header=BB4_93 Depth=3
	s_and_saveexec_b32 s46, s7
	s_cbranch_execz .LBB4_151
; %bb.139:                              ;   in Loop: Header=BB4_93 Depth=3
	s_mov_b32 s56, exec_lo
	s_mov_b32 s47, exec_lo
	v_mbcnt_lo_u32_b32 v53, s56, 0
	s_waitcnt vmcnt(0) lgkmcnt(0)
	s_waitcnt_vscnt null, 0x0
	buffer_gl1_inv
	buffer_gl0_inv
	v_cmpx_eq_u32_e32 0, v53
	s_cbranch_execz .LBB4_141
; %bb.140:                              ;   in Loop: Header=BB4_93 Depth=3
	s_bcnt1_i32_b32 s56, s56
	v_mov_b32_e32 v54, v26
	v_mov_b32_e32 v53, s56
	ds_add_u64 v0, v[53:54]
	s_trap 2
.LBB4_141:                              ;   in Loop: Header=BB4_93 Depth=3
	s_or_b32 exec_lo, exec_lo, s47
	s_trap 2
	ds_read_b64 v[53:54], v0
	s_waitcnt lgkmcnt(0)
	buffer_gl0_inv
	v_add_co_u32 v10, vcc_lo, v10, v97
	v_add_co_ci_u32_e64 v11, null, 0, v11, vcc_lo
	s_mov_b32 s47, exec_lo
	v_cmpx_lt_u64_e64 v[53:54], v[10:11]
	s_cbranch_execz .LBB4_150
; %bb.142:                              ;   in Loop: Header=BB4_93 Depth=3
	s_mov_b32 s56, 0
	s_mov_b32 s59, 0
                                        ; implicit-def: $sgpr57
                                        ; implicit-def: $sgpr58
	s_inst_prefetch 0x1
	s_branch .LBB4_144
	.p2align	6
.LBB4_143:                              ;   in Loop: Header=BB4_144 Depth=4
	s_or_b32 exec_lo, exec_lo, s61
	s_and_b32 s60, exec_lo, s62
	s_or_b32 s56, s60, s56
	s_andn2_b32 s57, s57, exec_lo
	s_and_b32 s60, s58, exec_lo
	s_or_b32 s57, s57, s60
	s_andn2_b32 exec_lo, exec_lo, s56
	s_cbranch_execz .LBB4_148
.LBB4_144:                              ;   Parent Loop BB4_53 Depth=1
                                        ;     Parent Loop BB4_89 Depth=2
                                        ;       Parent Loop BB4_93 Depth=3
                                        ; =>      This Inner Loop Header: Depth=4
	s_add_i32 s59, s59, 1
	s_cmpk_lg_i32 s59, 0x2710
	s_cselect_b32 s60, -1, 0
	s_and_b32 vcc_lo, exec_lo, s60
	s_cbranch_vccz .LBB4_146
; %bb.145:                              ;   in Loop: Header=BB4_144 Depth=4
	s_mov_b32 s62, -1
	s_or_b32 s58, s58, exec_lo
	s_and_saveexec_b32 s61, s60
	s_cbranch_execz .LBB4_143
	s_branch .LBB4_147
	.p2align	6
.LBB4_146:                              ;   in Loop: Header=BB4_144 Depth=4
	s_trap 2
	ds_read_b64 v[53:54], v0
	s_andn2_b32 s60, s60, exec_lo
	s_mov_b32 s59, 0
	s_waitcnt lgkmcnt(0)
	flat_load_dword v53, v[53:54] glc dlc
	s_waitcnt vmcnt(0) lgkmcnt(0)
	buffer_gl1_inv
	buffer_gl0_inv
	v_cmp_eq_u32_e32 vcc_lo, 0, v53
	s_and_b32 s61, vcc_lo, exec_lo
	s_or_b32 s60, s60, s61
	s_mov_b32 s62, -1
	s_or_b32 s58, s58, exec_lo
	s_and_saveexec_b32 s61, s60
	s_cbranch_execz .LBB4_143
.LBB4_147:                              ;   in Loop: Header=BB4_144 Depth=4
	s_sleep 1
	s_trap 2
	ds_read_b64 v[53:54], v0
	s_waitcnt lgkmcnt(0)
	buffer_gl0_inv
	s_andn2_b32 s58, s58, exec_lo
	v_cmp_ge_u64_e32 vcc_lo, v[53:54], v[10:11]
	s_orn2_b32 s62, vcc_lo, exec_lo
	s_branch .LBB4_143
.LBB4_148:                              ;   in Loop: Header=BB4_93 Depth=3
	s_inst_prefetch 0x2
	s_or_b32 exec_lo, exec_lo, s56
	s_and_saveexec_b32 s56, s57
	s_xor_b32 s56, exec_lo, s56
	s_cbranch_execz .LBB4_150
; %bb.149:                              ;   in Loop: Header=BB4_93 Depth=3
	ds_write_b32 v0, v115
	s_trap 2
.LBB4_150:                              ;   in Loop: Header=BB4_93 Depth=3
	s_or_b32 exec_lo, exec_lo, s47
	;;#ASMSTART
	s_wakeup
	;;#ASMEND
.LBB4_151:                              ;   in Loop: Header=BB4_93 Depth=3
	s_or_b32 exec_lo, exec_lo, s46
.LBB4_152:                              ;   in Loop: Header=BB4_93 Depth=3
	s_andn2_saveexec_b32 s15, s15
	s_cbranch_execz .LBB4_154
; %bb.153:                              ;   in Loop: Header=BB4_93 Depth=3
	s_waitcnt vmcnt(0) lgkmcnt(0)
	s_waitcnt_vscnt null, 0x0
	buffer_gl1_inv
	buffer_gl0_inv
	s_barrier
.LBB4_154:                              ;   in Loop: Header=BB4_93 Depth=3
	s_or_b32 exec_lo, exec_lo, s15
.LBB4_155:                              ;   in Loop: Header=BB4_93 Depth=3
	s_or_b32 exec_lo, exec_lo, s14
	s_trap 2
	ds_read_b64 v[53:54], v0
	s_waitcnt lgkmcnt(0)
	v_cmp_eq_u64_e32 vcc_lo, 0, v[53:54]
	s_cbranch_vccnz .LBB4_163
; %bb.156:                              ;   in Loop: Header=BB4_93 Depth=3
	s_trap 2
	ds_read_b64 v[64:65], v0
	s_waitcnt lgkmcnt(0)
	v_cmp_eq_u64_e32 vcc_lo, 0, v[64:65]
	s_cbranch_vccnz .LBB4_163
; %bb.157:                              ;   in Loop: Header=BB4_93 Depth=3
	s_mov_b32 s14, -1
	s_and_saveexec_b32 s15, s6
	s_cbranch_execz .LBB4_159
; %bb.158:                              ;   in Loop: Header=BB4_93 Depth=3
	ds_read_b32 v55, v0 offset:720
	s_waitcnt lgkmcnt(0)
	v_and_b32_e32 v55, 15, v55
	v_cmp_eq_u32_e32 vcc_lo, 0, v55
	s_orn2_b32 s14, vcc_lo, exec_lo
.LBB4_159:                              ;   in Loop: Header=BB4_93 Depth=3
	s_or_b32 exec_lo, exec_lo, s15
	s_and_saveexec_b32 s15, s11
	s_cbranch_execz .LBB4_161
; %bb.160:                              ;   in Loop: Header=BB4_93 Depth=3
	ds_read_b32 v55, v0 offset:784
	s_waitcnt lgkmcnt(0)
	v_and_b32_e32 v55, 15, v55
	v_cmp_eq_u32_e32 vcc_lo, 0, v55
	s_and_b32 s46, s14, vcc_lo
	s_andn2_b32 s14, s14, exec_lo
	s_and_b32 s46, s46, exec_lo
	s_or_b32 s14, s14, s46
.LBB4_161:                              ;   in Loop: Header=BB4_93 Depth=3
	s_or_b32 exec_lo, exec_lo, s15
	v_cmp_eq_u32_e32 vcc_lo, 0, v27
	s_xor_b32 s14, s14, -1
	v_mov_b32_e32 v67, v0
	v_cndmask_b32_e64 v55, 0, 1, s14
	v_mov_b32_e32 v81, v28
	v_cndmask_b32_e32 v27, 0, v52, vcc_lo
	s_mov_b32 s14, -1
	v_cmp_ne_u32_e32 vcc_lo, 0, v55
	v_mov_b32_e32 v55, 0
	v_mov_b32_e32 v66, v27
	s_cbranch_vccz .LBB4_164
; %bb.162:                              ;   in Loop: Header=BB4_93 Depth=3
	s_and_saveexec_b32 s15, s14
	s_cbranch_execnz .LBB4_177
	s_branch .LBB4_185
.LBB4_163:                              ;   in Loop: Header=BB4_93 Depth=3
	s_mov_b32 s14, 0
	s_and_saveexec_b32 s15, s5
	s_cbranch_execnz .LBB4_186
	s_branch .LBB4_204
.LBB4_164:                              ;   in Loop: Header=BB4_93 Depth=3
	v_ashrrev_i32_e32 v55, 31, v27
	s_mov_b32 s15, exec_lo
	v_lshrrev_b32_e32 v55, 21, v55
	v_add_nc_u32_e32 v55, v27, v55
	v_ashrrev_i32_e32 v55, 11, v55
	v_sub_nc_u32_e32 v70, v55, v28
	v_cmpx_lt_i32_e32 0, v70
	s_cbranch_execz .LBB4_168
; %bb.165:                              ;   in Loop: Header=BB4_93 Depth=3
	v_mov_b32_e32 v67, v65
	v_mov_b32_e32 v69, v54
	;; [unrolled: 1-line block ×4, first 2 shown]
	s_mov_b32 s46, 0
	s_inst_prefetch 0x1
	.p2align	6
.LBB4_166:                              ;   Parent Loop BB4_53 Depth=1
                                        ;     Parent Loop BB4_89 Depth=2
                                        ;       Parent Loop BB4_93 Depth=3
                                        ; =>      This Inner Loop Header: Depth=4
	v_add_co_u32 v45, vcc_lo, v100, v68
	v_add_co_ci_u32_e64 v46, null, v101, v69, vcc_lo
	v_sub_nc_u32_e32 v70, v70, v97
	s_clause 0x3
	global_load_dwordx4 v[80:83], v[45:46], off slc
	global_load_dwordx4 v[41:44], v[45:46], off offset:512 slc
	global_load_dwordx4 v[56:59], v[45:46], off offset:1024 slc
	;; [unrolled: 1-line block ×3, first 2 shown]
	v_add_co_u32 v45, vcc_lo, v100, v66
	v_add_co_ci_u32_e64 v46, null, v101, v67, vcc_lo
	v_add_co_u32 v68, vcc_lo, v68, v98
	v_add_co_ci_u32_e64 v69, null, 0, v69, vcc_lo
	v_add_co_u32 v66, vcc_lo, v66, v98
	v_cmp_gt_i32_e64 s14, 1, v70
	v_add_co_ci_u32_e64 v67, null, 0, v67, vcc_lo
	s_waitcnt vmcnt(3)
	global_store_dwordx4 v[45:46], v[80:83], off glc slc
	s_waitcnt vmcnt(2)
	global_store_dwordx4 v[45:46], v[41:44], off offset:512 glc slc
	s_waitcnt vmcnt(1)
	global_store_dwordx4 v[45:46], v[56:59], off offset:1024 glc slc
	s_waitcnt vmcnt(0)
	global_store_dwordx4 v[45:46], v[60:63], off offset:1536 glc slc
	s_or_b32 s46, s14, s46
	s_andn2_b32 exec_lo, exec_lo, s46
	s_cbranch_execnz .LBB4_166
; %bb.167:                              ;   in Loop: Header=BB4_93 Depth=3
	s_inst_prefetch 0x2
	s_or_b32 exec_lo, exec_lo, s46
.LBB4_168:                              ;   in Loop: Header=BB4_93 Depth=3
	s_or_b32 exec_lo, exec_lo, s15
	v_lshlrev_b32_e32 v68, 11, v55
	v_mov_b32_e32 v55, 0
	s_mov_b32 s14, 0
	s_mov_b32 s46, exec_lo
                                        ; implicit-def: $vgpr66
                                        ; implicit-def: $vgpr67
                                        ; implicit-def: $vgpr81
	v_cmpx_ne_u32_e64 v27, v68
	s_cbranch_execz .LBB4_176
; %bb.169:                              ;   in Loop: Header=BB4_93 Depth=3
	v_lshlrev_b32_e32 v55, 5, v70
	v_sub_nc_u32_e32 v67, v27, v68
	s_mov_b32 s47, exec_lo
	v_sub_nc_u32_e32 v55, v99, v55
	v_ashrrev_i32_e32 v69, 31, v67
	v_ashrrev_i32_e32 v66, 31, v55
	v_lshrrev_b32_e32 v69, 23, v69
	v_lshrrev_b32_e32 v66, 27, v66
	v_add_nc_u32_e32 v80, v67, v69
	v_add_nc_u32_e32 v66, v55, v66
	v_and_b32_e32 v69, 0xfffffe00, v80
	v_ashrrev_i32_e32 v80, 9, v80
	v_and_b32_e32 v70, 0xffffffe0, v66
	v_sub_nc_u32_e32 v71, v67, v69
	v_ashrrev_i32_e32 v81, 5, v66
	v_sub_nc_u32_e32 v70, v55, v70
	v_cmp_lt_i32_e32 vcc_lo, 15, v71
	v_lshlrev_b32_e32 v55, 4, v70
	v_add_co_ci_u32_e64 v80, null, 0, v80, vcc_lo
	v_lshl_add_u32 v66, v81, 9, v55
	v_sub_nc_u32_e32 v80, v80, v81
	v_sub_nc_u32_e32 v55, v67, v66
	v_cmpx_lt_i32_e32 15, v55
	s_cbranch_execz .LBB4_173
; %bb.170:                              ;   in Loop: Header=BB4_93 Depth=3
	v_add_nc_u32_e32 v66, v66, v68
	s_mov_b32 s56, 0
	v_ashrrev_i32_e32 v67, 31, v66
	.p2align	6
.LBB4_171:                              ;   Parent Loop BB4_53 Depth=1
                                        ;     Parent Loop BB4_89 Depth=2
                                        ;       Parent Loop BB4_93 Depth=3
                                        ; =>      This Inner Loop Header: Depth=4
	v_add_co_u32 v81, s14, v53, v66
	v_add_co_ci_u32_e64 v82, null, v54, v67, s14
	v_sub_nc_u32_e32 v55, v55, v102
	v_add_co_u32 v41, s14, v64, v66
	global_load_dwordx4 v[81:84], v[81:82], off slc
	v_add_co_ci_u32_e64 v42, null, v65, v67, s14
	v_cmp_gt_i32_e64 s14, 16, v55
	v_add_co_u32 v66, s15, v66, v102
	v_sub_nc_u32_e32 v80, v80, v97
	v_add_co_ci_u32_e64 v67, null, 0, v67, s15
	s_or_b32 s56, s14, s56
	s_waitcnt vmcnt(0)
	global_store_dwordx4 v[41:42], v[81:84], off glc slc
	s_andn2_b32 exec_lo, exec_lo, s56
	s_cbranch_execnz .LBB4_171
; %bb.172:                              ;   in Loop: Header=BB4_93 Depth=3
	s_or_b32 exec_lo, exec_lo, s56
.LBB4_173:                              ;   in Loop: Header=BB4_93 Depth=3
	s_or_b32 exec_lo, exec_lo, s47
	v_and_b32_e32 v82, 15, v27
	v_mov_b32_e32 v55, 0
	s_mov_b32 s15, 0
	s_mov_b32 s47, exec_lo
                                        ; implicit-def: $vgpr67
                                        ; implicit-def: $vgpr81
	v_cndmask_b32_e32 v66, v71, v82, vcc_lo
	v_cmpx_ne_u32_e32 0, v66
	s_cbranch_execz .LBB4_175
; %bb.174:                              ;   in Loop: Header=BB4_93 Depth=3
	v_cmp_lt_i32_e64 s14, 0, v80
	s_mov_b32 s15, exec_lo
	v_cndmask_b32_e64 v55, 0, v97, s14
	v_sub_nc_u32_e32 v55, v55, v80
	v_lshl_add_u32 v67, v55, 5, v70
	v_sub_nc_u32_e32 v70, v71, v82
	v_ashrrev_i32_e32 v55, 31, v67
	v_cndmask_b32_e32 v70, 0, v70, vcc_lo
	v_lshrrev_b32_e32 v55, 27, v55
	v_add_nc_u32_e32 v71, v67, v55
	v_add3_u32 v55, v69, v68, v70
	v_ashrrev_i32_e32 v81, 5, v71
.LBB4_175:                              ;   in Loop: Header=BB4_93 Depth=3
	s_or_b32 exec_lo, exec_lo, s47
	s_and_b32 s14, s15, exec_lo
.LBB4_176:                              ;   in Loop: Header=BB4_93 Depth=3
	s_or_b32 exec_lo, exec_lo, s46
	s_and_saveexec_b32 s15, s14
	s_cbranch_execz .LBB4_185
.LBB4_177:                              ;   in Loop: Header=BB4_93 Depth=3
	v_ashrrev_i32_e32 v68, 31, v66
	v_ashrrev_i32_e32 v69, 31, v67
	s_mov_b32 s14, exec_lo
	v_lshrrev_b32_e32 v68, 23, v68
	v_lshrrev_b32_e32 v69, 27, v69
	v_add_nc_u32_e32 v68, v66, v68
	v_ashrrev_i32_e32 v70, 9, v68
	v_sub_nc_u32_e32 v68, v70, v81
	v_cmpx_lt_i32_e32 0, v68
	s_cbranch_execz .LBB4_181
; %bb.178:                              ;   in Loop: Header=BB4_93 Depth=3
	v_add_nc_u32_e32 v71, v67, v69
	v_lshlrev_b32_e32 v80, 9, v81
	s_mov_b32 s46, 0
	v_and_b32_e32 v71, 0xffffffe0, v71
	v_sub_nc_u32_e32 v71, v67, v71
	v_add3_u32 v71, v55, v71, v80
	v_ashrrev_i32_e32 v80, 31, v71
.LBB4_179:                              ;   Parent Loop BB4_53 Depth=1
                                        ;     Parent Loop BB4_89 Depth=2
                                        ;       Parent Loop BB4_93 Depth=3
                                        ; =>      This Inner Loop Header: Depth=4
	v_add_co_u32 v81, vcc_lo, v71, v53
	v_add_co_ci_u32_e64 v82, null, v80, v54, vcc_lo
	v_sub_nc_u32_e32 v68, v68, v97
	s_clause 0xf
	flat_load_ubyte v83, v[81:82] slc
	flat_load_ubyte v84, v[81:82] offset:32 slc
	flat_load_ubyte v41, v[81:82] offset:64 slc
	;; [unrolled: 1-line block ×15, first 2 shown]
	v_add_co_u32 v81, vcc_lo, v71, v64
	v_add_co_ci_u32_e64 v82, null, v80, v65, vcc_lo
	v_add_co_u32 v53, vcc_lo, v53, v102
	v_add_co_ci_u32_e64 v54, null, 0, v54, vcc_lo
	;; [unrolled: 2-line block ×3, first 2 shown]
	v_cmp_gt_i32_e32 vcc_lo, 1, v68
	s_waitcnt vmcnt(15) lgkmcnt(15)
	flat_store_byte v[81:82], v83 glc slc
	s_waitcnt vmcnt(14) lgkmcnt(15)
	flat_store_byte v[81:82], v84 offset:32 glc slc
	s_waitcnt vmcnt(13) lgkmcnt(15)
	flat_store_byte v[81:82], v41 offset:64 glc slc
	;; [unrolled: 2-line block ×15, first 2 shown]
	s_or_b32 s46, vcc_lo, s46
	s_andn2_b32 exec_lo, exec_lo, s46
	s_cbranch_execnz .LBB4_179
; %bb.180:                              ;   in Loop: Header=BB4_93 Depth=3
	s_or_b32 exec_lo, exec_lo, s46
.LBB4_181:                              ;   in Loop: Header=BB4_93 Depth=3
	s_or_b32 exec_lo, exec_lo, s14
	v_lshlrev_b32_e32 v53, 9, v70
	v_cmp_ne_u32_e32 vcc_lo, v66, v53
	s_and_b32 exec_lo, exec_lo, vcc_lo
	s_cbranch_execz .LBB4_185
; %bb.182:                              ;   in Loop: Header=BB4_93 Depth=3
	v_add_nc_u32_e32 v54, v67, v69
	v_lshlrev_b32_e32 v64, 5, v68
	v_and_b32_e32 v54, 0xffffffe0, v54
	v_sub_nc_u32_e32 v54, v67, v54
	v_sub_nc_u32_e32 v54, v54, v64
	v_add_nc_u32_e32 v65, v53, v54
	v_sub_nc_u32_e32 v64, v66, v65
	v_cmp_lt_i32_e32 vcc_lo, 0, v64
	s_and_b32 exec_lo, exec_lo, vcc_lo
	s_cbranch_execz .LBB4_185
; %bb.183:                              ;   in Loop: Header=BB4_93 Depth=3
	s_trap 2
	ds_read_b64 v[53:54], v0
	v_add_nc_u32_e32 v55, v65, v55
	s_mov_b32 s46, 0
	v_ashrrev_i32_e32 v65, 31, v55
	.p2align	6
.LBB4_184:                              ;   Parent Loop BB4_53 Depth=1
                                        ;     Parent Loop BB4_89 Depth=2
                                        ;       Parent Loop BB4_93 Depth=3
                                        ; =>      This Inner Loop Header: Depth=4
	s_waitcnt lgkmcnt(0)
	v_add_co_u32 v66, vcc_lo, v53, v55
	v_add_co_ci_u32_e64 v67, null, v54, v65, vcc_lo
	v_sub_nc_u32_e32 v64, v64, v103
	v_add_co_u32 v55, s14, v55, v103
	flat_load_ubyte v68, v[66:67] slc
	v_add_co_ci_u32_e64 v65, null, 0, v65, s14
	v_cmp_gt_i32_e32 vcc_lo, 1, v64
	s_or_b32 s46, vcc_lo, s46
	s_waitcnt vmcnt(0) lgkmcnt(0)
	flat_store_byte v[66:67], v68 glc slc
	s_andn2_b32 exec_lo, exec_lo, s46
	s_cbranch_execnz .LBB4_184
.LBB4_185:                              ;   in Loop: Header=BB4_93 Depth=3
	s_or_b32 exec_lo, exec_lo, s15
	v_cmp_lt_i32_e64 s14, 0, v27
	s_and_saveexec_b32 s15, s5
	s_cbranch_execz .LBB4_204
.LBB4_186:                              ;   in Loop: Header=BB4_93 Depth=3
	s_and_saveexec_b32 s46, s24
	s_xor_b32 s46, exec_lo, s46
	s_cbranch_execz .LBB4_201
; %bb.187:                              ;   in Loop: Header=BB4_93 Depth=3
	s_and_saveexec_b32 s47, s7
	s_cbranch_execz .LBB4_200
; %bb.188:                              ;   in Loop: Header=BB4_93 Depth=3
	s_mov_b32 s57, exec_lo
	s_mov_b32 s56, exec_lo
	v_mbcnt_lo_u32_b32 v27, s57, 0
	s_waitcnt vmcnt(0) lgkmcnt(0)
	s_waitcnt_vscnt null, 0x0
	buffer_gl1_inv
	buffer_gl0_inv
	v_cmpx_eq_u32_e32 0, v27
	s_cbranch_execz .LBB4_190
; %bb.189:                              ;   in Loop: Header=BB4_93 Depth=3
	s_bcnt1_i32_b32 s57, s57
	v_mov_b32_e32 v54, v26
	v_mov_b32_e32 v53, s57
	ds_add_u64 v0, v[53:54]
	s_trap 2
.LBB4_190:                              ;   in Loop: Header=BB4_93 Depth=3
	s_or_b32 exec_lo, exec_lo, s56
	s_trap 2
	ds_read_b64 v[53:54], v0
	s_waitcnt lgkmcnt(0)
	buffer_gl0_inv
	v_add_co_u32 v10, vcc_lo, v10, v97
	v_add_co_ci_u32_e64 v11, null, 0, v11, vcc_lo
	s_mov_b32 s56, exec_lo
	v_cmpx_lt_u64_e64 v[53:54], v[10:11]
	s_cbranch_execz .LBB4_199
; %bb.191:                              ;   in Loop: Header=BB4_93 Depth=3
	s_mov_b32 s57, 0
	s_mov_b32 s60, 0
                                        ; implicit-def: $sgpr58
                                        ; implicit-def: $sgpr59
	s_inst_prefetch 0x1
	s_branch .LBB4_193
	.p2align	6
.LBB4_192:                              ;   in Loop: Header=BB4_193 Depth=4
	s_or_b32 exec_lo, exec_lo, s62
	s_and_b32 s61, exec_lo, s63
	s_or_b32 s57, s61, s57
	s_andn2_b32 s58, s58, exec_lo
	s_and_b32 s61, s59, exec_lo
	s_or_b32 s58, s58, s61
	s_andn2_b32 exec_lo, exec_lo, s57
	s_cbranch_execz .LBB4_197
.LBB4_193:                              ;   Parent Loop BB4_53 Depth=1
                                        ;     Parent Loop BB4_89 Depth=2
                                        ;       Parent Loop BB4_93 Depth=3
                                        ; =>      This Inner Loop Header: Depth=4
	s_add_i32 s60, s60, 1
	s_cmpk_lg_i32 s60, 0x2710
	s_cselect_b32 s61, -1, 0
	s_and_b32 vcc_lo, exec_lo, s61
	s_cbranch_vccz .LBB4_195
; %bb.194:                              ;   in Loop: Header=BB4_193 Depth=4
	s_mov_b32 s63, -1
	s_or_b32 s59, s59, exec_lo
	s_and_saveexec_b32 s62, s61
	s_cbranch_execz .LBB4_192
	s_branch .LBB4_196
	.p2align	6
.LBB4_195:                              ;   in Loop: Header=BB4_193 Depth=4
	s_trap 2
	ds_read_b64 v[53:54], v0
	s_andn2_b32 s61, s61, exec_lo
	s_mov_b32 s60, 0
	s_waitcnt lgkmcnt(0)
	flat_load_dword v27, v[53:54] glc dlc
	s_waitcnt vmcnt(0) lgkmcnt(0)
	buffer_gl1_inv
	buffer_gl0_inv
	v_cmp_eq_u32_e32 vcc_lo, 0, v27
	s_and_b32 s62, vcc_lo, exec_lo
	s_or_b32 s61, s61, s62
	s_mov_b32 s63, -1
	s_or_b32 s59, s59, exec_lo
	s_and_saveexec_b32 s62, s61
	s_cbranch_execz .LBB4_192
.LBB4_196:                              ;   in Loop: Header=BB4_193 Depth=4
	s_sleep 1
	s_trap 2
	ds_read_b64 v[53:54], v0
	s_waitcnt lgkmcnt(0)
	buffer_gl0_inv
	s_andn2_b32 s59, s59, exec_lo
	v_cmp_ge_u64_e32 vcc_lo, v[53:54], v[10:11]
	s_orn2_b32 s63, vcc_lo, exec_lo
	s_branch .LBB4_192
.LBB4_197:                              ;   in Loop: Header=BB4_93 Depth=3
	s_inst_prefetch 0x2
	s_or_b32 exec_lo, exec_lo, s57
	s_and_saveexec_b32 s57, s58
	s_xor_b32 s57, exec_lo, s57
	s_cbranch_execz .LBB4_199
; %bb.198:                              ;   in Loop: Header=BB4_93 Depth=3
	ds_write_b32 v0, v115
	s_trap 2
.LBB4_199:                              ;   in Loop: Header=BB4_93 Depth=3
	s_or_b32 exec_lo, exec_lo, s56
	;;#ASMSTART
	s_wakeup
	;;#ASMEND
.LBB4_200:                              ;   in Loop: Header=BB4_93 Depth=3
	s_or_b32 exec_lo, exec_lo, s47
.LBB4_201:                              ;   in Loop: Header=BB4_93 Depth=3
	s_andn2_saveexec_b32 s46, s46
	s_cbranch_execz .LBB4_203
; %bb.202:                              ;   in Loop: Header=BB4_93 Depth=3
	s_waitcnt vmcnt(0) lgkmcnt(0)
	s_waitcnt_vscnt null, 0x0
	buffer_gl1_inv
	buffer_gl0_inv
	s_barrier
.LBB4_203:                              ;   in Loop: Header=BB4_93 Depth=3
	s_or_b32 exec_lo, exec_lo, s46
.LBB4_204:                              ;   in Loop: Header=BB4_93 Depth=3
	s_or_b32 exec_lo, exec_lo, s15
	v_and_b32_e32 v27, 16, v87
	v_cmp_ne_u32_e32 vcc_lo, 0, v27
	s_and_b32 s15, vcc_lo, s14
	s_and_saveexec_b32 s14, s15
	s_cbranch_execz .LBB4_206
; %bb.205:                              ;   in Loop: Header=BB4_93 Depth=3
	s_waitcnt vmcnt(0) lgkmcnt(0)
	s_waitcnt_vscnt null, 0x0
	buffer_gl1_inv
	buffer_gl0_inv
.LBB4_206:                              ;   in Loop: Header=BB4_93 Depth=3
	s_or_b32 exec_lo, exec_lo, s14
	s_mov_b32 s14, exec_lo
	v_cmpx_ne_u32_e32 0, v27
	s_cbranch_execz .LBB4_92
; %bb.207:                              ;   in Loop: Header=BB4_93 Depth=3
	s_and_saveexec_b32 s15, s13
	s_cbranch_execz .LBB4_91
; %bb.208:                              ;   in Loop: Header=BB4_93 Depth=3
	s_waitcnt vmcnt(0) lgkmcnt(0)
	s_waitcnt_vscnt null, 0x0
	flat_store_dword v[20:21], v115
	s_branch .LBB4_91
.LBB4_209:                              ;   in Loop: Header=BB4_89 Depth=2
	s_or_b32 exec_lo, exec_lo, s43
.LBB4_210:                              ;   in Loop: Header=BB4_89 Depth=2
	s_or_b32 exec_lo, exec_lo, s42
	s_mov_b32 s15, exec_lo
	v_cmpx_gt_i32_e32 2, v27
	s_cbranch_execz .LBB4_261
; %bb.211:                              ;   in Loop: Header=BB4_89 Depth=2
	v_cmp_eq_u32_e64 s43, 0, v27
	s_mov_b32 s42, 0
	s_branch .LBB4_214
.LBB4_212:                              ;   in Loop: Header=BB4_214 Depth=3
	s_or_b32 exec_lo, exec_lo, s43
	v_add_co_u32 v48, vcc_lo, v48, 2
	v_add_co_ci_u32_e64 v49, null, 0, v49, vcc_lo
	s_waitcnt vmcnt(0) lgkmcnt(0)
	s_waitcnt_vscnt null, 0x0
	flat_store_dwordx2 v[16:17], v[48:49]
.LBB4_213:                              ;   in Loop: Header=BB4_214 Depth=3
	s_or_b32 exec_lo, exec_lo, s14
	v_add_nc_u32_e32 v9, v52, v9
	s_mov_b32 s43, 0
	s_andn2_b32 exec_lo, exec_lo, s42
	s_cbranch_execz .LBB4_260
.LBB4_214:                              ;   Parent Loop BB4_53 Depth=1
                                        ;     Parent Loop BB4_89 Depth=2
                                        ; =>    This Loop Header: Depth=3
                                        ;         Child Loop BB4_220 Depth 4
                                        ;         Child Loop BB4_244 Depth 4
	v_sub_nc_u32_e32 v27, v8, v9
	v_and_b32_e32 v53, 8, v87
	s_mov_b32 s44, exec_lo
	v_min_i32_e32 v52, v52, v27
	v_cmpx_ne_u32_e32 0, v53
	s_cbranch_execz .LBB4_236
; %bb.215:                              ;   in Loop: Header=BB4_214 Depth=3
	s_waitcnt vmcnt(0)
	v_add_co_u32 v64, vcc_lo, v22, 8
	v_add_co_ci_u32_e64 v65, null, 0, v23, vcc_lo
	v_add_co_u32 v54, vcc_lo, v48, 2
	v_add_co_ci_u32_e64 v55, null, 0, v49, vcc_lo
	s_mov_b32 s45, exec_lo
	v_cmpx_lt_u64_e64 v[64:65], v[54:55]
	s_cbranch_execz .LBB4_227
; %bb.216:                              ;   in Loop: Header=BB4_214 Depth=3
	v_and_b32_e32 v22, 64, v87
	s_mov_b32 s46, 0
	s_mov_b32 s58, 0
                                        ; implicit-def: $sgpr47
                                        ; implicit-def: $sgpr56
                                        ; implicit-def: $sgpr57
	v_cmp_eq_u32_e32 vcc_lo, 0, v22
	s_branch .LBB4_220
.LBB4_217:                              ;   in Loop: Header=BB4_220 Depth=4
	s_waitcnt vmcnt(0) lgkmcnt(0)
	v_add_co_u32 v64, s14, v22, 8
	v_add_co_ci_u32_e64 v65, null, 0, v23, s14
	s_or_b32 s61, s61, exec_lo
	v_cmp_ge_u64_e64 s14, v[64:65], v[54:55]
	s_orn2_b32 s60, s14, exec_lo
.LBB4_218:                              ;   in Loop: Header=BB4_220 Depth=4
	s_or_b32 exec_lo, exec_lo, s63
	s_andn2_b32 s14, s57, exec_lo
	s_and_b32 s57, s61, exec_lo
	s_andn2_b32 s56, s56, exec_lo
	s_and_b32 s60, s60, exec_lo
	s_or_b32 s57, s14, s57
	s_or_b32 s56, s56, s60
.LBB4_219:                              ;   in Loop: Header=BB4_220 Depth=4
	s_or_b32 exec_lo, exec_lo, s59
	s_and_b32 s14, exec_lo, s56
	s_or_b32 s46, s14, s46
	s_andn2_b32 s14, s47, exec_lo
	s_and_b32 s47, s57, exec_lo
	s_or_b32 s47, s14, s47
	s_andn2_b32 exec_lo, exec_lo, s46
	s_cbranch_execz .LBB4_224
.LBB4_220:                              ;   Parent Loop BB4_53 Depth=1
                                        ;     Parent Loop BB4_89 Depth=2
                                        ;       Parent Loop BB4_214 Depth=3
                                        ; =>      This Inner Loop Header: Depth=4
	s_sleep 1
	s_waitcnt vmcnt(0) lgkmcnt(0)
	flat_load_dwordx2 v[22:23], v[16:17] glc dlc
	s_or_b32 s57, s57, exec_lo
	s_or_b32 s56, s56, exec_lo
                                        ; implicit-def: $vgpr27
	s_and_saveexec_b32 s59, vcc_lo
	s_cbranch_execz .LBB4_219
; %bb.221:                              ;   in Loop: Header=BB4_220 Depth=4
	s_cmpk_lt_i32 s58, 0x270f
	s_mov_b32 s60, -1
	s_cselect_b32 s62, -1, 0
	s_cmpk_gt_i32 s58, 0x270e
	s_cbranch_scc0 .LBB4_223
; %bb.222:                              ;   in Loop: Header=BB4_220 Depth=4
	s_trap 2
	ds_read_b64 v[64:65], v0
	s_andn2_b32 s58, s62, exec_lo
	s_mov_b32 s61, 0
	s_waitcnt vmcnt(0) lgkmcnt(0)
	s_waitcnt_vscnt null, 0x0
	flat_load_dword v27, v[64:65] glc dlc
	s_waitcnt vmcnt(0) lgkmcnt(0)
	buffer_gl1_inv
	buffer_gl0_inv
	v_cmp_eq_u32_e64 s14, 0, v27
	s_and_b32 s14, s14, exec_lo
	s_or_b32 s62, s58, s14
	s_mov_b32 s58, 0
	s_and_saveexec_b32 s63, s62
	s_cbranch_execz .LBB4_218
	s_branch .LBB4_217
.LBB4_223:                              ;   in Loop: Header=BB4_220 Depth=4
	s_add_i32 s58, s58, 1
	s_mov_b32 s61, -1
                                        ; implicit-def: $vgpr27
	s_and_saveexec_b32 s63, s62
	s_cbranch_execz .LBB4_218
	s_branch .LBB4_217
.LBB4_224:                              ;   in Loop: Header=BB4_214 Depth=3
	s_or_b32 exec_lo, exec_lo, s46
	s_xor_b32 s14, s47, -1
	s_and_saveexec_b32 s46, s14
	s_xor_b32 s14, exec_lo, s46
	s_cbranch_execz .LBB4_226
; %bb.225:                              ;   in Loop: Header=BB4_214 Depth=3
	v_or_b32_e32 v87, 64, v87
	s_waitcnt vmcnt(0) lgkmcnt(0)
	s_waitcnt_vscnt null, 0x0
	ds_write_b32 v0, v27
	s_trap 2
.LBB4_226:                              ;   in Loop: Header=BB4_214 Depth=3
	s_or_b32 exec_lo, exec_lo, s14
.LBB4_227:                              ;   in Loop: Header=BB4_214 Depth=3
	s_or_b32 exec_lo, exec_lo, s45
	v_and_b32_e32 v27, 0x100, v87
	s_mov_b32 s14, -1
	;;#ASMSTART
	s_wakeup
	;;#ASMEND
	v_cmp_ne_u32_e32 vcc_lo, 0, v27
	v_and_b32_e32 v27, 7, v48
                                        ; implicit-def: $vgpr48_vgpr49
	s_and_saveexec_b32 s45, vcc_lo
	s_cbranch_execz .LBB4_231
; %bb.228:                              ;   in Loop: Header=BB4_214 Depth=3
	v_mad_u64_u32 v[64:65], null, v27, 24, v[4:5]
	v_ashrrev_i32_e32 v53, 31, v52
	flat_load_dword v48, v[64:65]
	flat_store_dwordx2 v[64:65], v[52:53] offset:8
	s_waitcnt vmcnt(0) lgkmcnt(1)
	v_cmp_eq_u32_e64 s14, 1, v48
	v_cmp_ne_u32_e32 vcc_lo, 1, v48
                                        ; implicit-def: $vgpr48_vgpr49
	s_and_saveexec_b32 s46, s14
	s_cbranch_execz .LBB4_230
; %bb.229:                              ;   in Loop: Header=BB4_214 Depth=3
	flat_load_dword v48, v[64:65] offset:4 glc dlc
	s_waitcnt vmcnt(0) lgkmcnt(0)
	v_ashrrev_i32_e32 v49, 31, v48
.LBB4_230:                              ;   in Loop: Header=BB4_214 Depth=3
	s_or_b32 exec_lo, exec_lo, s46
	s_orn2_b32 s14, vcc_lo, exec_lo
.LBB4_231:                              ;   in Loop: Header=BB4_214 Depth=3
	s_or_b32 exec_lo, exec_lo, s45
	s_and_saveexec_b32 s45, s14
; %bb.232:                              ;   in Loop: Header=BB4_214 Depth=3
	v_mad_i64_i32 v[48:49], null, v27, v96, 0
; %bb.233:                              ;   in Loop: Header=BB4_214 Depth=3
	s_or_b32 exec_lo, exec_lo, s45
	v_add_co_u32 v48, vcc_lo, v18, v48
	v_and_b32_e32 v27, 0x2000, v87
	v_add_co_ci_u32_e64 v49, null, v19, v49, vcc_lo
	s_mov_b32 s14, exec_lo
	ds_write_b64 v0, v[48:49] offset:784
	v_cmpx_ne_u32_e32 0, v27
	s_cbranch_execz .LBB4_235
; %bb.234:                              ;   in Loop: Header=BB4_214 Depth=3
	ds_read_b64 v[48:49], v0 offset:872
	s_waitcnt lgkmcnt(0)
	v_add_co_u32 v48, vcc_lo, v48, 1
	v_add_co_ci_u32_e64 v49, null, 0, v49, vcc_lo
	ds_write_b64 v0, v[48:49] offset:872
.LBB4_235:                              ;   in Loop: Header=BB4_214 Depth=3
	s_or_b32 exec_lo, exec_lo, s14
	v_mov_b32_e32 v48, v54
	v_mov_b32_e32 v49, v55
.LBB4_236:                              ;   in Loop: Header=BB4_214 Depth=3
	s_or_b32 exec_lo, exec_lo, s44
	s_xor_b32 s14, s43, -1
	s_and_b32 s14, exec_lo, s14
	s_or_b32 s42, s14, s42
	s_and_saveexec_b32 s14, s5
	s_cbranch_execz .LBB4_255
; %bb.237:                              ;   in Loop: Header=BB4_214 Depth=3
	s_and_saveexec_b32 s43, s24
	s_xor_b32 s43, exec_lo, s43
	s_cbranch_execz .LBB4_252
; %bb.238:                              ;   in Loop: Header=BB4_214 Depth=3
	s_and_saveexec_b32 s44, s7
	s_cbranch_execz .LBB4_251
; %bb.239:                              ;   in Loop: Header=BB4_214 Depth=3
	s_mov_b32 s46, exec_lo
	s_mov_b32 s45, exec_lo
	v_mbcnt_lo_u32_b32 v27, s46, 0
	s_waitcnt vmcnt(0) lgkmcnt(0)
	s_waitcnt_vscnt null, 0x0
	buffer_gl1_inv
	buffer_gl0_inv
	v_cmpx_eq_u32_e32 0, v27
	s_cbranch_execz .LBB4_241
; %bb.240:                              ;   in Loop: Header=BB4_214 Depth=3
	s_bcnt1_i32_b32 s46, s46
	v_mov_b32_e32 v54, v26
	v_mov_b32_e32 v53, s46
	ds_add_u64 v0, v[53:54]
	s_trap 2
.LBB4_241:                              ;   in Loop: Header=BB4_214 Depth=3
	s_or_b32 exec_lo, exec_lo, s45
	s_trap 2
	ds_read_b64 v[53:54], v0
	s_waitcnt lgkmcnt(0)
	buffer_gl0_inv
	v_add_co_u32 v10, vcc_lo, v10, v97
	v_add_co_ci_u32_e64 v11, null, 0, v11, vcc_lo
	s_mov_b32 s45, exec_lo
	v_cmpx_lt_u64_e64 v[53:54], v[10:11]
	s_cbranch_execz .LBB4_250
; %bb.242:                              ;   in Loop: Header=BB4_214 Depth=3
	s_mov_b32 s46, 0
	s_mov_b32 s57, 0
                                        ; implicit-def: $sgpr47
                                        ; implicit-def: $sgpr56
	s_inst_prefetch 0x1
	s_branch .LBB4_244
	.p2align	6
.LBB4_243:                              ;   in Loop: Header=BB4_244 Depth=4
	s_or_b32 exec_lo, exec_lo, s59
	s_and_b32 s58, exec_lo, s60
	s_or_b32 s46, s58, s46
	s_andn2_b32 s47, s47, exec_lo
	s_and_b32 s58, s56, exec_lo
	s_or_b32 s47, s47, s58
	s_andn2_b32 exec_lo, exec_lo, s46
	s_cbranch_execz .LBB4_248
.LBB4_244:                              ;   Parent Loop BB4_53 Depth=1
                                        ;     Parent Loop BB4_89 Depth=2
                                        ;       Parent Loop BB4_214 Depth=3
                                        ; =>      This Inner Loop Header: Depth=4
	s_add_i32 s57, s57, 1
	s_cmpk_lg_i32 s57, 0x2710
	s_cselect_b32 s58, -1, 0
	s_and_b32 vcc_lo, exec_lo, s58
	s_cbranch_vccz .LBB4_246
; %bb.245:                              ;   in Loop: Header=BB4_244 Depth=4
	s_mov_b32 s60, -1
	s_or_b32 s56, s56, exec_lo
	s_and_saveexec_b32 s59, s58
	s_cbranch_execz .LBB4_243
	s_branch .LBB4_247
	.p2align	6
.LBB4_246:                              ;   in Loop: Header=BB4_244 Depth=4
	s_trap 2
	ds_read_b64 v[53:54], v0
	s_andn2_b32 s58, s58, exec_lo
	s_mov_b32 s57, 0
	s_waitcnt lgkmcnt(0)
	flat_load_dword v27, v[53:54] glc dlc
	s_waitcnt vmcnt(0) lgkmcnt(0)
	buffer_gl1_inv
	buffer_gl0_inv
	v_cmp_eq_u32_e32 vcc_lo, 0, v27
	s_and_b32 s59, vcc_lo, exec_lo
	s_or_b32 s58, s58, s59
	s_mov_b32 s60, -1
	s_or_b32 s56, s56, exec_lo
	s_and_saveexec_b32 s59, s58
	s_cbranch_execz .LBB4_243
.LBB4_247:                              ;   in Loop: Header=BB4_244 Depth=4
	s_sleep 1
	s_trap 2
	ds_read_b64 v[53:54], v0
	s_waitcnt lgkmcnt(0)
	buffer_gl0_inv
	s_andn2_b32 s56, s56, exec_lo
	v_cmp_ge_u64_e32 vcc_lo, v[53:54], v[10:11]
	s_orn2_b32 s60, vcc_lo, exec_lo
	s_branch .LBB4_243
.LBB4_248:                              ;   in Loop: Header=BB4_214 Depth=3
	s_inst_prefetch 0x2
	s_or_b32 exec_lo, exec_lo, s46
	s_and_saveexec_b32 s46, s47
	s_xor_b32 s46, exec_lo, s46
	s_cbranch_execz .LBB4_250
; %bb.249:                              ;   in Loop: Header=BB4_214 Depth=3
	ds_write_b32 v0, v115
	s_trap 2
.LBB4_250:                              ;   in Loop: Header=BB4_214 Depth=3
	s_or_b32 exec_lo, exec_lo, s45
	;;#ASMSTART
	s_wakeup
	;;#ASMEND
.LBB4_251:                              ;   in Loop: Header=BB4_214 Depth=3
	s_or_b32 exec_lo, exec_lo, s44
.LBB4_252:                              ;   in Loop: Header=BB4_214 Depth=3
	s_andn2_saveexec_b32 s43, s43
	s_cbranch_execz .LBB4_254
; %bb.253:                              ;   in Loop: Header=BB4_214 Depth=3
	s_waitcnt vmcnt(0) lgkmcnt(0)
	s_waitcnt_vscnt null, 0x0
	buffer_gl1_inv
	buffer_gl0_inv
	s_barrier
.LBB4_254:                              ;   in Loop: Header=BB4_214 Depth=3
	s_or_b32 exec_lo, exec_lo, s43
.LBB4_255:                              ;   in Loop: Header=BB4_214 Depth=3
	s_or_b32 exec_lo, exec_lo, s14
	s_trap 2
	ds_read_b32 v27, v0
	v_cmp_lt_i32_e32 vcc_lo, 0, v52
	s_waitcnt lgkmcnt(0)
	v_readfirstlane_b32 s14, v27
	v_and_b32_e32 v27, 16, v87
	s_cmp_eq_u32 s14, 0
	v_cmp_ne_u32_e64 s14, 0, v27
	s_cselect_b32 s43, -1, 0
	s_and_b32 s43, vcc_lo, s43
	s_and_b32 s43, s14, s43
	s_and_saveexec_b32 s14, s43
	s_cbranch_execz .LBB4_257
; %bb.256:                              ;   in Loop: Header=BB4_214 Depth=3
	s_waitcnt vmcnt(0)
	s_waitcnt_vscnt null, 0x0
	buffer_gl1_inv
	buffer_gl0_inv
.LBB4_257:                              ;   in Loop: Header=BB4_214 Depth=3
	s_or_b32 exec_lo, exec_lo, s14
	s_mov_b32 s14, exec_lo
	v_cmpx_ne_u32_e32 0, v27
	s_cbranch_execz .LBB4_213
; %bb.258:                              ;   in Loop: Header=BB4_214 Depth=3
	s_and_saveexec_b32 s43, s13
	s_cbranch_execz .LBB4_212
; %bb.259:                              ;   in Loop: Header=BB4_214 Depth=3
	s_waitcnt vmcnt(0)
	s_waitcnt_vscnt null, 0x0
	flat_store_dword v[20:21], v115
	s_branch .LBB4_212
.LBB4_260:                              ;   in Loop: Header=BB4_89 Depth=2
	s_or_b32 exec_lo, exec_lo, s42
.LBB4_261:                              ;   in Loop: Header=BB4_89 Depth=2
	s_or_b32 exec_lo, exec_lo, s15
	s_andn2_b32 vcc_lo, exec_lo, s40
	s_cbranch_vccnz .LBB4_444
; %bb.262:                              ;   in Loop: Header=BB4_89 Depth=2
	v_max_i32_e32 v68, 0, v8
	s_mov_b32 s42, 0
	v_add_nc_u32_e32 v8, 31, v68
	v_lshrrev_b32_e32 v8, 1, v8
	v_and_b32_e32 v8, 0x3ffffff0, v8
	v_max_i32_e32 v69, s23, v8
	s_branch .LBB4_265
.LBB4_263:                              ;   in Loop: Header=BB4_265 Depth=3
	s_or_b32 exec_lo, exec_lo, s43
.LBB4_264:                              ;   in Loop: Header=BB4_265 Depth=3
	s_or_b32 exec_lo, exec_lo, s15
	s_add_i32 s42, s42, 1
	s_cmp_eq_u32 s42, s20
	s_cbranch_scc1 .LBB4_444
.LBB4_265:                              ;   Parent Loop BB4_53 Depth=1
                                        ;     Parent Loop BB4_89 Depth=2
                                        ; =>    This Loop Header: Depth=3
                                        ;         Child Loop BB4_268 Depth 4
                                        ;           Child Loop BB4_276 Depth 5
                                        ;           Child Loop BB4_304 Depth 5
	;; [unrolled: 1-line block ×8, first 2 shown]
                                        ;         Child Loop BB4_393 Depth 4
                                        ;           Child Loop BB4_399 Depth 5
                                        ;           Child Loop BB4_427 Depth 5
	v_mov_b32_e32 v9, 0
	v_mov_b32_e32 v8, v69
	v_mov_b32_e32 v70, 0
	s_and_saveexec_b32 s43, s41
	s_cbranch_execz .LBB4_390
; %bb.266:                              ;   in Loop: Header=BB4_265 Depth=3
	v_mov_b32_e32 v70, 0
	v_mov_b32_e32 v8, v69
	s_mov_b32 s46, 1
	s_mov_b32 s45, -1
	s_mov_b32 s44, 0
	s_branch .LBB4_268
.LBB4_267:                              ;   in Loop: Header=BB4_268 Depth=4
	s_or_b32 exec_lo, exec_lo, s14
	v_add_nc_u32_e32 v70, v8, v70
	s_xor_b32 s14, s45, -1
	v_mov_b32_e32 v9, s46
	s_mov_b32 s45, 0
	s_mov_b32 s46, 2
	v_cmp_ge_i32_e32 vcc_lo, v70, v68
	s_or_b32 s14, s14, vcc_lo
	s_and_b32 s14, exec_lo, s14
	s_or_b32 s44, s14, s44
	s_andn2_b32 exec_lo, exec_lo, s44
	s_cbranch_execz .LBB4_389
.LBB4_268:                              ;   Parent Loop BB4_53 Depth=1
                                        ;     Parent Loop BB4_89 Depth=2
                                        ;       Parent Loop BB4_265 Depth=3
                                        ; =>      This Loop Header: Depth=4
                                        ;           Child Loop BB4_276 Depth 5
                                        ;           Child Loop BB4_304 Depth 5
	;; [unrolled: 1-line block ×8, first 2 shown]
	s_and_saveexec_b32 s14, s4
	s_cbranch_execz .LBB4_270
; %bb.269:                              ;   in Loop: Header=BB4_268 Depth=4
	v_mov_b32_e32 v27, v26
	ds_write_b64 v0, v[26:27]
	s_trap 2
.LBB4_270:                              ;   in Loop: Header=BB4_268 Depth=4
	s_or_b32 exec_lo, exec_lo, s14
	v_sub_nc_u32_e32 v9, v68, v70
	v_and_b32_e32 v27, 12, v87
	s_mov_b32 s15, exec_lo
	v_min_i32_e32 v8, v8, v9
	v_cmpx_ne_u32_e32 0, v27
	s_cbranch_execz .LBB4_296
; %bb.271:                              ;   in Loop: Header=BB4_268 Depth=4
	v_and_b32_e32 v27, 8, v87
	s_mov_b32 s47, exec_lo
	s_waitcnt vmcnt(0)
	v_add_co_u32 v54, vcc_lo, v22, v27
	v_add_co_ci_u32_e64 v55, null, 0, v23, vcc_lo
	v_add_co_u32 v52, vcc_lo, v48, 2
	v_add_co_ci_u32_e64 v53, null, 0, v49, vcc_lo
	v_cmpx_lt_u64_e64 v[54:55], v[52:53]
	s_cbranch_execz .LBB4_283
; %bb.272:                              ;   in Loop: Header=BB4_268 Depth=4
	v_and_b32_e32 v9, 64, v87
	s_mov_b32 s56, 0
	s_mov_b32 s60, 0
                                        ; implicit-def: $sgpr57
                                        ; implicit-def: $sgpr58
                                        ; implicit-def: $sgpr59
	v_cmp_eq_u32_e32 vcc_lo, 0, v9
	s_branch .LBB4_276
.LBB4_273:                              ;   in Loop: Header=BB4_276 Depth=5
	s_waitcnt vmcnt(0) lgkmcnt(0)
	v_add_co_u32 v54, s14, v22, v27
	v_add_co_ci_u32_e64 v55, null, 0, v23, s14
	s_or_b32 s63, s63, exec_lo
	v_cmp_ge_u64_e64 s14, v[54:55], v[52:53]
	s_orn2_b32 s62, s14, exec_lo
.LBB4_274:                              ;   in Loop: Header=BB4_276 Depth=5
	s_or_b32 exec_lo, exec_lo, s73
	s_andn2_b32 s14, s59, exec_lo
	s_and_b32 s59, s63, exec_lo
	s_andn2_b32 s58, s58, exec_lo
	s_and_b32 s62, s62, exec_lo
	s_or_b32 s59, s14, s59
	s_or_b32 s58, s58, s62
.LBB4_275:                              ;   in Loop: Header=BB4_276 Depth=5
	s_or_b32 exec_lo, exec_lo, s61
	s_and_b32 s14, exec_lo, s58
	s_or_b32 s56, s14, s56
	s_andn2_b32 s14, s57, exec_lo
	s_and_b32 s57, s59, exec_lo
	s_or_b32 s57, s14, s57
	s_andn2_b32 exec_lo, exec_lo, s56
	s_cbranch_execz .LBB4_280
.LBB4_276:                              ;   Parent Loop BB4_53 Depth=1
                                        ;     Parent Loop BB4_89 Depth=2
                                        ;       Parent Loop BB4_265 Depth=3
                                        ;         Parent Loop BB4_268 Depth=4
                                        ; =>        This Inner Loop Header: Depth=5
	s_sleep 1
	s_waitcnt vmcnt(0) lgkmcnt(0)
	flat_load_dwordx2 v[22:23], v[16:17] glc dlc
	s_or_b32 s59, s59, exec_lo
	s_or_b32 s58, s58, exec_lo
                                        ; implicit-def: $vgpr9
	s_and_saveexec_b32 s61, vcc_lo
	s_cbranch_execz .LBB4_275
; %bb.277:                              ;   in Loop: Header=BB4_276 Depth=5
	s_cmpk_lt_i32 s60, 0x270f
	s_mov_b32 s62, -1
	s_cselect_b32 s72, -1, 0
	s_cmpk_gt_i32 s60, 0x270e
	s_cbranch_scc0 .LBB4_279
; %bb.278:                              ;   in Loop: Header=BB4_276 Depth=5
	s_trap 2
	ds_read_b64 v[54:55], v0
	s_andn2_b32 s60, s72, exec_lo
	s_mov_b32 s63, 0
	s_waitcnt vmcnt(0) lgkmcnt(0)
	s_waitcnt_vscnt null, 0x0
	flat_load_dword v9, v[54:55] glc dlc
	s_waitcnt vmcnt(0) lgkmcnt(0)
	buffer_gl1_inv
	buffer_gl0_inv
	v_cmp_eq_u32_e64 s14, 0, v9
	s_and_b32 s14, s14, exec_lo
	s_or_b32 s72, s60, s14
	s_mov_b32 s60, 0
	s_and_saveexec_b32 s73, s72
	s_cbranch_execz .LBB4_274
	s_branch .LBB4_273
.LBB4_279:                              ;   in Loop: Header=BB4_276 Depth=5
	s_add_i32 s60, s60, 1
	s_mov_b32 s63, -1
                                        ; implicit-def: $vgpr9
	s_and_saveexec_b32 s73, s72
	s_cbranch_execz .LBB4_274
	s_branch .LBB4_273
.LBB4_280:                              ;   in Loop: Header=BB4_268 Depth=4
	s_or_b32 exec_lo, exec_lo, s56
	s_xor_b32 s14, s57, -1
	s_and_saveexec_b32 s56, s14
	s_xor_b32 s14, exec_lo, s56
	s_cbranch_execz .LBB4_282
; %bb.281:                              ;   in Loop: Header=BB4_268 Depth=4
	v_or_b32_e32 v87, 64, v87
	s_waitcnt vmcnt(0) lgkmcnt(0)
	s_waitcnt_vscnt null, 0x0
	ds_write_b32 v0, v9
	s_trap 2
.LBB4_282:                              ;   in Loop: Header=BB4_268 Depth=4
	s_or_b32 exec_lo, exec_lo, s14
.LBB4_283:                              ;   in Loop: Header=BB4_268 Depth=4
	s_or_b32 exec_lo, exec_lo, s47
	v_and_b32_e32 v9, 0x108, v87
	v_and_b32_e32 v64, 7, v48
	s_mov_b32 s14, exec_lo
	;;#ASMSTART
	s_wakeup
	;;#ASMEND
	v_cmpx_ne_u32_e32 0x108, v9
	s_xor_b32 s14, exec_lo, s14
                                        ; implicit-def: $vgpr65
; %bb.284:                              ;   in Loop: Header=BB4_268 Depth=4
	v_mov_b32_e32 v65, v26
; %bb.285:                              ;   in Loop: Header=BB4_268 Depth=4
	s_andn2_saveexec_b32 s14, s14
	s_cbranch_execz .LBB4_287
; %bb.286:                              ;   in Loop: Header=BB4_268 Depth=4
	v_mad_u64_u32 v[48:49], null, v64, 24, v[4:5]
	v_ashrrev_i32_e32 v9, 31, v8
	v_mov_b32_e32 v65, v26
	flat_store_dwordx2 v[48:49], v[8:9] offset:8
.LBB4_287:                              ;   in Loop: Header=BB4_268 Depth=4
	s_or_b32 exec_lo, exec_lo, s14
	v_and_b32_e32 v9, 0x100, v87
	s_mov_b32 s14, -1
	s_mov_b32 s47, exec_lo
                                        ; implicit-def: $vgpr48_vgpr49
	v_cmpx_ne_u32_e32 0, v9
	s_cbranch_execz .LBB4_291
; %bb.288:                              ;   in Loop: Header=BB4_268 Depth=4
	v_mad_u64_u32 v[54:55], null, v64, 24, v[4:5]
	s_mov_b32 s56, exec_lo
	v_mov_b32_e32 v9, v55
	v_mad_u64_u32 v[48:49], null, v65, 24, v[9:10]
	v_mov_b32_e32 v55, v48
                                        ; implicit-def: $vgpr48_vgpr49
	flat_load_dword v9, v[54:55]
	s_waitcnt vmcnt(0) lgkmcnt(0)
	v_cmp_ne_u32_e32 vcc_lo, 1, v9
	v_cmpx_eq_u32_e32 1, v9
	s_cbranch_execz .LBB4_290
; %bb.289:                              ;   in Loop: Header=BB4_268 Depth=4
	flat_load_dword v48, v[54:55] offset:4 glc dlc
	s_waitcnt vmcnt(0) lgkmcnt(0)
	v_ashrrev_i32_e32 v49, 31, v48
.LBB4_290:                              ;   in Loop: Header=BB4_268 Depth=4
	s_or_b32 exec_lo, exec_lo, s56
	s_orn2_b32 s14, vcc_lo, exec_lo
.LBB4_291:                              ;   in Loop: Header=BB4_268 Depth=4
	s_or_b32 exec_lo, exec_lo, s47
	s_and_saveexec_b32 s47, s14
; %bb.292:                              ;   in Loop: Header=BB4_268 Depth=4
	v_mul_lo_u32 v9, v65, v96
	v_mul_lo_u32 v54, v64, v112
	v_mad_u64_u32 v[48:49], null, v64, v96, 0
	v_add3_u32 v49, v49, v54, v9
; %bb.293:                              ;   in Loop: Header=BB4_268 Depth=4
	s_or_b32 exec_lo, exec_lo, s47
	v_cmp_eq_u32_e32 vcc_lo, 0, v27
	v_and_b32_e32 v27, 0x2000, v87
	s_mov_b32 s14, exec_lo
	v_cndmask_b32_e32 v9, 0xc8, v116, vcc_lo
	v_add_co_u32 v48, vcc_lo, v18, v48
	v_add_co_ci_u32_e64 v49, null, v19, v49, vcc_lo
	v_add_nc_u32_e32 v9, v0, v9
	ds_write_b64 v9, v[48:49] offset:584
	v_cmpx_ne_u32_e32 0, v27
	s_cbranch_execz .LBB4_295
; %bb.294:                              ;   in Loop: Header=BB4_268 Depth=4
	ds_read_b64 v[48:49], v0 offset:872
	s_waitcnt lgkmcnt(0)
	v_add_co_u32 v48, vcc_lo, v48, 1
	v_add_co_ci_u32_e64 v49, null, 0, v49, vcc_lo
	ds_write_b64 v0, v[48:49] offset:872
.LBB4_295:                              ;   in Loop: Header=BB4_268 Depth=4
	s_or_b32 exec_lo, exec_lo, s14
	v_mov_b32_e32 v48, v52
	v_mov_b32_e32 v49, v53
.LBB4_296:                              ;   in Loop: Header=BB4_268 Depth=4
	s_or_b32 exec_lo, exec_lo, s15
	s_and_saveexec_b32 s14, s5
	s_cbranch_execz .LBB4_315
; %bb.297:                              ;   in Loop: Header=BB4_268 Depth=4
	s_and_saveexec_b32 s15, s24
	s_xor_b32 s15, exec_lo, s15
	s_cbranch_execz .LBB4_312
; %bb.298:                              ;   in Loop: Header=BB4_268 Depth=4
	s_and_saveexec_b32 s47, s7
	s_cbranch_execz .LBB4_311
; %bb.299:                              ;   in Loop: Header=BB4_268 Depth=4
	s_mov_b32 s57, exec_lo
	s_mov_b32 s56, exec_lo
	v_mbcnt_lo_u32_b32 v9, s57, 0
	s_waitcnt vmcnt(0) lgkmcnt(0)
	s_waitcnt_vscnt null, 0x0
	buffer_gl1_inv
	buffer_gl0_inv
	v_cmpx_eq_u32_e32 0, v9
	s_cbranch_execz .LBB4_301
; %bb.300:                              ;   in Loop: Header=BB4_268 Depth=4
	s_bcnt1_i32_b32 s57, s57
	v_mov_b32_e32 v53, v26
	v_mov_b32_e32 v52, s57
	ds_add_u64 v0, v[52:53]
	s_trap 2
.LBB4_301:                              ;   in Loop: Header=BB4_268 Depth=4
	s_or_b32 exec_lo, exec_lo, s56
	s_trap 2
	ds_read_b64 v[52:53], v0
	s_waitcnt lgkmcnt(0)
	buffer_gl0_inv
	v_add_co_u32 v10, vcc_lo, v10, v97
	v_add_co_ci_u32_e64 v11, null, 0, v11, vcc_lo
	s_mov_b32 s56, exec_lo
	v_cmpx_lt_u64_e64 v[52:53], v[10:11]
	s_cbranch_execz .LBB4_310
; %bb.302:                              ;   in Loop: Header=BB4_268 Depth=4
	s_mov_b32 s57, 0
	s_mov_b32 s60, 0
                                        ; implicit-def: $sgpr58
                                        ; implicit-def: $sgpr59
	s_inst_prefetch 0x1
	s_branch .LBB4_304
	.p2align	6
.LBB4_303:                              ;   in Loop: Header=BB4_304 Depth=5
	s_or_b32 exec_lo, exec_lo, s62
	s_and_b32 s61, exec_lo, s63
	s_or_b32 s57, s61, s57
	s_andn2_b32 s58, s58, exec_lo
	s_and_b32 s61, s59, exec_lo
	s_or_b32 s58, s58, s61
	s_andn2_b32 exec_lo, exec_lo, s57
	s_cbranch_execz .LBB4_308
.LBB4_304:                              ;   Parent Loop BB4_53 Depth=1
                                        ;     Parent Loop BB4_89 Depth=2
                                        ;       Parent Loop BB4_265 Depth=3
                                        ;         Parent Loop BB4_268 Depth=4
                                        ; =>        This Inner Loop Header: Depth=5
	s_add_i32 s60, s60, 1
	s_cmpk_lg_i32 s60, 0x2710
	s_cselect_b32 s61, -1, 0
	s_and_b32 vcc_lo, exec_lo, s61
	s_cbranch_vccz .LBB4_306
; %bb.305:                              ;   in Loop: Header=BB4_304 Depth=5
	s_mov_b32 s63, -1
	s_or_b32 s59, s59, exec_lo
	s_and_saveexec_b32 s62, s61
	s_cbranch_execz .LBB4_303
	s_branch .LBB4_307
	.p2align	6
.LBB4_306:                              ;   in Loop: Header=BB4_304 Depth=5
	s_trap 2
	ds_read_b64 v[52:53], v0
	s_andn2_b32 s61, s61, exec_lo
	s_mov_b32 s60, 0
	s_waitcnt lgkmcnt(0)
	flat_load_dword v9, v[52:53] glc dlc
	s_waitcnt vmcnt(0) lgkmcnt(0)
	buffer_gl1_inv
	buffer_gl0_inv
	v_cmp_eq_u32_e32 vcc_lo, 0, v9
	s_and_b32 s62, vcc_lo, exec_lo
	s_or_b32 s61, s61, s62
	s_mov_b32 s63, -1
	s_or_b32 s59, s59, exec_lo
	s_and_saveexec_b32 s62, s61
	s_cbranch_execz .LBB4_303
.LBB4_307:                              ;   in Loop: Header=BB4_304 Depth=5
	s_sleep 1
	s_trap 2
	ds_read_b64 v[52:53], v0
	s_waitcnt lgkmcnt(0)
	buffer_gl0_inv
	s_andn2_b32 s59, s59, exec_lo
	v_cmp_ge_u64_e32 vcc_lo, v[52:53], v[10:11]
	s_orn2_b32 s63, vcc_lo, exec_lo
	s_branch .LBB4_303
.LBB4_308:                              ;   in Loop: Header=BB4_268 Depth=4
	s_inst_prefetch 0x2
	s_or_b32 exec_lo, exec_lo, s57
	s_and_saveexec_b32 s57, s58
	s_xor_b32 s57, exec_lo, s57
	s_cbranch_execz .LBB4_310
; %bb.309:                              ;   in Loop: Header=BB4_268 Depth=4
	ds_write_b32 v0, v115
	s_trap 2
.LBB4_310:                              ;   in Loop: Header=BB4_268 Depth=4
	s_or_b32 exec_lo, exec_lo, s56
	;;#ASMSTART
	s_wakeup
	;;#ASMEND
.LBB4_311:                              ;   in Loop: Header=BB4_268 Depth=4
	s_or_b32 exec_lo, exec_lo, s47
.LBB4_312:                              ;   in Loop: Header=BB4_268 Depth=4
	s_andn2_saveexec_b32 s15, s15
	s_cbranch_execz .LBB4_314
; %bb.313:                              ;   in Loop: Header=BB4_268 Depth=4
	s_waitcnt vmcnt(0) lgkmcnt(0)
	s_waitcnt_vscnt null, 0x0
	buffer_gl1_inv
	buffer_gl0_inv
	s_barrier
.LBB4_314:                              ;   in Loop: Header=BB4_268 Depth=4
	s_or_b32 exec_lo, exec_lo, s15
.LBB4_315:                              ;   in Loop: Header=BB4_268 Depth=4
	s_or_b32 exec_lo, exec_lo, s14
	s_trap 2
	ds_read_b32 v9, v0
	v_and_b32_e32 v27, 0x4000, v87
	s_xor_b32 s14, s10, -1
	v_cmp_ne_u32_e32 vcc_lo, 0, v27
	s_and_b32 s15, s14, vcc_lo
	s_and_saveexec_b32 s14, s15
	s_cbranch_execz .LBB4_334
; %bb.316:                              ;   in Loop: Header=BB4_268 Depth=4
	s_and_saveexec_b32 s15, s24
	s_xor_b32 s15, exec_lo, s15
	s_cbranch_execz .LBB4_331
; %bb.317:                              ;   in Loop: Header=BB4_268 Depth=4
	s_and_saveexec_b32 s47, s7
	s_cbranch_execz .LBB4_330
; %bb.318:                              ;   in Loop: Header=BB4_268 Depth=4
	s_mov_b32 s57, exec_lo
	s_mov_b32 s56, exec_lo
	v_mbcnt_lo_u32_b32 v27, s57, 0
	s_waitcnt vmcnt(0) lgkmcnt(0)
	s_waitcnt_vscnt null, 0x0
	buffer_gl1_inv
	buffer_gl0_inv
	v_cmpx_eq_u32_e32 0, v27
	s_cbranch_execz .LBB4_320
; %bb.319:                              ;   in Loop: Header=BB4_268 Depth=4
	s_bcnt1_i32_b32 s57, s57
	v_mov_b32_e32 v53, v26
	v_mov_b32_e32 v52, s57
	ds_add_u64 v0, v[52:53]
	s_trap 2
.LBB4_320:                              ;   in Loop: Header=BB4_268 Depth=4
	s_or_b32 exec_lo, exec_lo, s56
	s_trap 2
	ds_read_b64 v[52:53], v0
	s_waitcnt lgkmcnt(0)
	buffer_gl0_inv
	v_add_co_u32 v10, vcc_lo, v10, v97
	v_add_co_ci_u32_e64 v11, null, 0, v11, vcc_lo
	s_mov_b32 s56, exec_lo
	v_cmpx_lt_u64_e64 v[52:53], v[10:11]
	s_cbranch_execz .LBB4_329
; %bb.321:                              ;   in Loop: Header=BB4_268 Depth=4
	s_mov_b32 s57, 0
	s_mov_b32 s60, 0
                                        ; implicit-def: $sgpr58
                                        ; implicit-def: $sgpr59
	s_inst_prefetch 0x1
	s_branch .LBB4_323
	.p2align	6
.LBB4_322:                              ;   in Loop: Header=BB4_323 Depth=5
	s_or_b32 exec_lo, exec_lo, s62
	s_and_b32 s61, exec_lo, s63
	s_or_b32 s57, s61, s57
	s_andn2_b32 s58, s58, exec_lo
	s_and_b32 s61, s59, exec_lo
	s_or_b32 s58, s58, s61
	s_andn2_b32 exec_lo, exec_lo, s57
	s_cbranch_execz .LBB4_327
.LBB4_323:                              ;   Parent Loop BB4_53 Depth=1
                                        ;     Parent Loop BB4_89 Depth=2
                                        ;       Parent Loop BB4_265 Depth=3
                                        ;         Parent Loop BB4_268 Depth=4
                                        ; =>        This Inner Loop Header: Depth=5
	s_add_i32 s60, s60, 1
	s_cmpk_lg_i32 s60, 0x2710
	s_cselect_b32 s61, -1, 0
	s_and_b32 vcc_lo, exec_lo, s61
	s_cbranch_vccz .LBB4_325
; %bb.324:                              ;   in Loop: Header=BB4_323 Depth=5
	s_mov_b32 s63, -1
	s_or_b32 s59, s59, exec_lo
	s_and_saveexec_b32 s62, s61
	s_cbranch_execz .LBB4_322
	s_branch .LBB4_326
	.p2align	6
.LBB4_325:                              ;   in Loop: Header=BB4_323 Depth=5
	s_trap 2
	ds_read_b64 v[52:53], v0
	s_andn2_b32 s61, s61, exec_lo
	s_mov_b32 s60, 0
	s_waitcnt lgkmcnt(0)
	flat_load_dword v27, v[52:53] glc dlc
	s_waitcnt vmcnt(0) lgkmcnt(0)
	buffer_gl1_inv
	buffer_gl0_inv
	v_cmp_eq_u32_e32 vcc_lo, 0, v27
	s_and_b32 s62, vcc_lo, exec_lo
	s_or_b32 s61, s61, s62
	s_mov_b32 s63, -1
	s_or_b32 s59, s59, exec_lo
	s_and_saveexec_b32 s62, s61
	s_cbranch_execz .LBB4_322
.LBB4_326:                              ;   in Loop: Header=BB4_323 Depth=5
	s_sleep 1
	s_trap 2
	ds_read_b64 v[52:53], v0
	s_waitcnt lgkmcnt(0)
	buffer_gl0_inv
	s_andn2_b32 s59, s59, exec_lo
	v_cmp_ge_u64_e32 vcc_lo, v[52:53], v[10:11]
	s_orn2_b32 s63, vcc_lo, exec_lo
	s_branch .LBB4_322
.LBB4_327:                              ;   in Loop: Header=BB4_268 Depth=4
	s_inst_prefetch 0x2
	s_or_b32 exec_lo, exec_lo, s57
	s_and_saveexec_b32 s57, s58
	s_xor_b32 s57, exec_lo, s57
	s_cbranch_execz .LBB4_329
; %bb.328:                              ;   in Loop: Header=BB4_268 Depth=4
	ds_write_b32 v0, v115
	s_trap 2
.LBB4_329:                              ;   in Loop: Header=BB4_268 Depth=4
	s_or_b32 exec_lo, exec_lo, s56
	;;#ASMSTART
	s_wakeup
	;;#ASMEND
.LBB4_330:                              ;   in Loop: Header=BB4_268 Depth=4
	s_or_b32 exec_lo, exec_lo, s47
.LBB4_331:                              ;   in Loop: Header=BB4_268 Depth=4
	s_andn2_saveexec_b32 s15, s15
	s_cbranch_execz .LBB4_333
; %bb.332:                              ;   in Loop: Header=BB4_268 Depth=4
	s_waitcnt vmcnt(0) lgkmcnt(0)
	s_waitcnt_vscnt null, 0x0
	buffer_gl1_inv
	buffer_gl0_inv
	s_barrier
.LBB4_333:                              ;   in Loop: Header=BB4_268 Depth=4
	s_or_b32 exec_lo, exec_lo, s15
.LBB4_334:                              ;   in Loop: Header=BB4_268 Depth=4
	s_or_b32 exec_lo, exec_lo, s14
	s_trap 2
	ds_read_b64 v[52:53], v0
	s_waitcnt lgkmcnt(0)
	v_cmp_eq_u64_e32 vcc_lo, 0, v[52:53]
	s_cbranch_vccnz .LBB4_342
; %bb.335:                              ;   in Loop: Header=BB4_268 Depth=4
	s_trap 2
	ds_read_b64 v[54:55], v0
	s_waitcnt lgkmcnt(0)
	v_cmp_eq_u64_e32 vcc_lo, 0, v[54:55]
	s_cbranch_vccnz .LBB4_342
; %bb.336:                              ;   in Loop: Header=BB4_268 Depth=4
	s_mov_b32 s14, -1
	s_and_saveexec_b32 s15, s11
	s_cbranch_execz .LBB4_338
; %bb.337:                              ;   in Loop: Header=BB4_268 Depth=4
	ds_read_b32 v27, v0 offset:720
	s_waitcnt lgkmcnt(0)
	v_and_b32_e32 v27, 15, v27
	v_cmp_eq_u32_e32 vcc_lo, 0, v27
	s_orn2_b32 s14, vcc_lo, exec_lo
.LBB4_338:                              ;   in Loop: Header=BB4_268 Depth=4
	s_or_b32 exec_lo, exec_lo, s15
	s_and_saveexec_b32 s15, s11
	s_cbranch_execz .LBB4_340
; %bb.339:                              ;   in Loop: Header=BB4_268 Depth=4
	ds_read_b32 v27, v0 offset:784
	s_waitcnt lgkmcnt(0)
	v_and_b32_e32 v27, 15, v27
	v_cmp_eq_u32_e32 vcc_lo, 0, v27
	s_and_b32 s47, s14, vcc_lo
	s_andn2_b32 s14, s14, exec_lo
	s_and_b32 s47, s47, exec_lo
	s_or_b32 s14, s14, s47
.LBB4_340:                              ;   in Loop: Header=BB4_268 Depth=4
	s_or_b32 exec_lo, exec_lo, s15
	v_cmp_eq_u32_e32 vcc_lo, 0, v9
	s_xor_b32 s14, s14, -1
	v_mov_b32_e32 v65, v0
	v_cndmask_b32_e64 v27, 0, 1, s14
	v_mov_b32_e32 v82, v28
	v_cndmask_b32_e32 v9, 0, v8, vcc_lo
	s_mov_b32 s14, -1
	v_cmp_ne_u32_e32 vcc_lo, 0, v27
	v_mov_b32_e32 v27, 0
	v_mov_b32_e32 v64, v9
	s_cbranch_vccz .LBB4_343
; %bb.341:                              ;   in Loop: Header=BB4_268 Depth=4
	s_and_saveexec_b32 s15, s14
	s_cbranch_execnz .LBB4_356
	s_branch .LBB4_364
.LBB4_342:                              ;   in Loop: Header=BB4_268 Depth=4
	s_mov_b32 s14, 0
	s_and_saveexec_b32 s15, s5
	s_cbranch_execnz .LBB4_365
	s_branch .LBB4_383
.LBB4_343:                              ;   in Loop: Header=BB4_268 Depth=4
	v_ashrrev_i32_e32 v27, 31, v9
	s_mov_b32 s15, exec_lo
	v_lshrrev_b32_e32 v27, 21, v27
	v_add_nc_u32_e32 v27, v9, v27
	v_ashrrev_i32_e32 v27, 11, v27
	v_sub_nc_u32_e32 v71, v27, v28
	v_cmpx_lt_i32_e32 0, v71
	s_cbranch_execz .LBB4_347
; %bb.344:                              ;   in Loop: Header=BB4_268 Depth=4
	v_mov_b32_e32 v65, v55
	v_mov_b32_e32 v67, v53
	;; [unrolled: 1-line block ×4, first 2 shown]
	s_mov_b32 s47, 0
	s_inst_prefetch 0x1
	.p2align	6
.LBB4_345:                              ;   Parent Loop BB4_53 Depth=1
                                        ;     Parent Loop BB4_89 Depth=2
                                        ;       Parent Loop BB4_265 Depth=3
                                        ;         Parent Loop BB4_268 Depth=4
                                        ; =>        This Inner Loop Header: Depth=5
	v_add_co_u32 v45, vcc_lo, v100, v66
	v_add_co_ci_u32_e64 v46, null, v101, v67, vcc_lo
	v_sub_nc_u32_e32 v71, v71, v97
	s_clause 0x3
	global_load_dwordx4 v[80:83], v[45:46], off slc
	global_load_dwordx4 v[41:44], v[45:46], off offset:512 slc
	global_load_dwordx4 v[56:59], v[45:46], off offset:1024 slc
	global_load_dwordx4 v[60:63], v[45:46], off offset:1536 slc
	v_add_co_u32 v45, vcc_lo, v100, v64
	v_add_co_ci_u32_e64 v46, null, v101, v65, vcc_lo
	v_add_co_u32 v66, vcc_lo, v66, v98
	v_add_co_ci_u32_e64 v67, null, 0, v67, vcc_lo
	v_add_co_u32 v64, vcc_lo, v64, v98
	v_cmp_gt_i32_e64 s14, 1, v71
	v_add_co_ci_u32_e64 v65, null, 0, v65, vcc_lo
	s_waitcnt vmcnt(3)
	global_store_dwordx4 v[45:46], v[80:83], off glc slc
	s_waitcnt vmcnt(2)
	global_store_dwordx4 v[45:46], v[41:44], off offset:512 glc slc
	s_waitcnt vmcnt(1)
	global_store_dwordx4 v[45:46], v[56:59], off offset:1024 glc slc
	;; [unrolled: 2-line block ×3, first 2 shown]
	s_or_b32 s47, s14, s47
	s_andn2_b32 exec_lo, exec_lo, s47
	s_cbranch_execnz .LBB4_345
; %bb.346:                              ;   in Loop: Header=BB4_268 Depth=4
	s_inst_prefetch 0x2
	s_or_b32 exec_lo, exec_lo, s47
.LBB4_347:                              ;   in Loop: Header=BB4_268 Depth=4
	s_or_b32 exec_lo, exec_lo, s15
	v_lshlrev_b32_e32 v66, 11, v27
	v_mov_b32_e32 v27, 0
	s_mov_b32 s14, 0
	s_mov_b32 s47, exec_lo
                                        ; implicit-def: $vgpr64
                                        ; implicit-def: $vgpr65
                                        ; implicit-def: $vgpr82
	v_cmpx_ne_u32_e64 v9, v66
	s_cbranch_execz .LBB4_355
; %bb.348:                              ;   in Loop: Header=BB4_268 Depth=4
	v_lshlrev_b32_e32 v27, 5, v71
	v_sub_nc_u32_e32 v65, v9, v66
	s_mov_b32 s56, exec_lo
	v_sub_nc_u32_e32 v27, v99, v27
	v_ashrrev_i32_e32 v67, 31, v65
	v_ashrrev_i32_e32 v64, 31, v27
	v_lshrrev_b32_e32 v67, 23, v67
	v_lshrrev_b32_e32 v64, 27, v64
	v_add_nc_u32_e32 v81, v65, v67
	v_add_nc_u32_e32 v64, v27, v64
	v_and_b32_e32 v67, 0xfffffe00, v81
	v_ashrrev_i32_e32 v81, 9, v81
	v_and_b32_e32 v71, 0xffffffe0, v64
	v_sub_nc_u32_e32 v80, v65, v67
	v_ashrrev_i32_e32 v82, 5, v64
	v_sub_nc_u32_e32 v71, v27, v71
	v_cmp_lt_i32_e32 vcc_lo, 15, v80
	v_lshlrev_b32_e32 v27, 4, v71
	v_add_co_ci_u32_e64 v81, null, 0, v81, vcc_lo
	v_lshl_add_u32 v64, v82, 9, v27
	v_sub_nc_u32_e32 v81, v81, v82
	v_sub_nc_u32_e32 v27, v65, v64
	v_cmpx_lt_i32_e32 15, v27
	s_cbranch_execz .LBB4_352
; %bb.349:                              ;   in Loop: Header=BB4_268 Depth=4
	v_add_nc_u32_e32 v64, v64, v66
	s_mov_b32 s57, 0
	v_ashrrev_i32_e32 v65, 31, v64
	.p2align	6
.LBB4_350:                              ;   Parent Loop BB4_53 Depth=1
                                        ;     Parent Loop BB4_89 Depth=2
                                        ;       Parent Loop BB4_265 Depth=3
                                        ;         Parent Loop BB4_268 Depth=4
                                        ; =>        This Inner Loop Header: Depth=5
	v_add_co_u32 v82, s14, v52, v64
	v_add_co_ci_u32_e64 v83, null, v53, v65, s14
	v_sub_nc_u32_e32 v27, v27, v102
	v_sub_nc_u32_e32 v81, v81, v97
	global_load_dwordx4 v[41:44], v[82:83], off slc
	v_add_co_u32 v82, s14, v54, v64
	v_add_co_ci_u32_e64 v83, null, v55, v65, s14
	v_cmp_gt_i32_e64 s14, 16, v27
	v_add_co_u32 v64, s15, v64, v102
	v_add_co_ci_u32_e64 v65, null, 0, v65, s15
	s_or_b32 s57, s14, s57
	s_waitcnt vmcnt(0)
	global_store_dwordx4 v[82:83], v[41:44], off glc slc
	s_andn2_b32 exec_lo, exec_lo, s57
	s_cbranch_execnz .LBB4_350
; %bb.351:                              ;   in Loop: Header=BB4_268 Depth=4
	s_or_b32 exec_lo, exec_lo, s57
.LBB4_352:                              ;   in Loop: Header=BB4_268 Depth=4
	s_or_b32 exec_lo, exec_lo, s56
	v_and_b32_e32 v83, 15, v9
	v_mov_b32_e32 v27, 0
	s_mov_b32 s15, 0
	s_mov_b32 s56, exec_lo
                                        ; implicit-def: $vgpr65
                                        ; implicit-def: $vgpr82
	v_cndmask_b32_e32 v64, v80, v83, vcc_lo
	v_cmpx_ne_u32_e32 0, v64
	s_cbranch_execz .LBB4_354
; %bb.353:                              ;   in Loop: Header=BB4_268 Depth=4
	v_cmp_lt_i32_e64 s14, 0, v81
	s_mov_b32 s15, exec_lo
	v_cndmask_b32_e64 v27, 0, v97, s14
	v_sub_nc_u32_e32 v27, v27, v81
	v_lshl_add_u32 v65, v27, 5, v71
	v_sub_nc_u32_e32 v71, v80, v83
	v_ashrrev_i32_e32 v27, 31, v65
	v_cndmask_b32_e32 v71, 0, v71, vcc_lo
	v_lshrrev_b32_e32 v27, 27, v27
	v_add_nc_u32_e32 v80, v65, v27
	v_add3_u32 v27, v67, v66, v71
	v_ashrrev_i32_e32 v82, 5, v80
.LBB4_354:                              ;   in Loop: Header=BB4_268 Depth=4
	s_or_b32 exec_lo, exec_lo, s56
	s_and_b32 s14, s15, exec_lo
.LBB4_355:                              ;   in Loop: Header=BB4_268 Depth=4
	s_or_b32 exec_lo, exec_lo, s47
	s_and_saveexec_b32 s15, s14
	s_cbranch_execz .LBB4_364
.LBB4_356:                              ;   in Loop: Header=BB4_268 Depth=4
	v_ashrrev_i32_e32 v66, 31, v64
	v_ashrrev_i32_e32 v67, 31, v65
	s_mov_b32 s14, exec_lo
	v_lshrrev_b32_e32 v66, 23, v66
	v_lshrrev_b32_e32 v67, 27, v67
	v_add_nc_u32_e32 v66, v64, v66
	v_ashrrev_i32_e32 v71, 9, v66
	v_sub_nc_u32_e32 v66, v71, v82
	v_cmpx_lt_i32_e32 0, v66
	s_cbranch_execz .LBB4_360
; %bb.357:                              ;   in Loop: Header=BB4_268 Depth=4
	v_add_nc_u32_e32 v80, v65, v67
	v_lshlrev_b32_e32 v81, 9, v82
	s_mov_b32 s47, 0
	v_and_b32_e32 v80, 0xffffffe0, v80
	v_sub_nc_u32_e32 v80, v65, v80
	v_add3_u32 v80, v27, v80, v81
	v_ashrrev_i32_e32 v81, 31, v80
.LBB4_358:                              ;   Parent Loop BB4_53 Depth=1
                                        ;     Parent Loop BB4_89 Depth=2
                                        ;       Parent Loop BB4_265 Depth=3
                                        ;         Parent Loop BB4_268 Depth=4
                                        ; =>        This Inner Loop Header: Depth=5
	v_add_co_u32 v82, vcc_lo, v80, v52
	v_add_co_ci_u32_e64 v83, null, v81, v53, vcc_lo
	v_sub_nc_u32_e32 v66, v66, v97
	s_clause 0xf
	flat_load_ubyte v84, v[82:83] slc
	flat_load_ubyte v41, v[82:83] offset:32 slc
	flat_load_ubyte v42, v[82:83] offset:64 slc
	;; [unrolled: 1-line block ×15, first 2 shown]
	v_add_co_u32 v82, vcc_lo, v80, v54
	v_add_co_ci_u32_e64 v83, null, v81, v55, vcc_lo
	v_add_co_u32 v52, vcc_lo, v52, v102
	v_add_co_ci_u32_e64 v53, null, 0, v53, vcc_lo
	;; [unrolled: 2-line block ×3, first 2 shown]
	v_cmp_gt_i32_e32 vcc_lo, 1, v66
	s_waitcnt vmcnt(15) lgkmcnt(15)
	flat_store_byte v[82:83], v84 glc slc
	s_waitcnt vmcnt(14) lgkmcnt(15)
	flat_store_byte v[82:83], v41 offset:32 glc slc
	s_waitcnt vmcnt(13) lgkmcnt(15)
	flat_store_byte v[82:83], v42 offset:64 glc slc
	;; [unrolled: 2-line block ×15, first 2 shown]
	s_or_b32 s47, vcc_lo, s47
	s_andn2_b32 exec_lo, exec_lo, s47
	s_cbranch_execnz .LBB4_358
; %bb.359:                              ;   in Loop: Header=BB4_268 Depth=4
	s_or_b32 exec_lo, exec_lo, s47
.LBB4_360:                              ;   in Loop: Header=BB4_268 Depth=4
	s_or_b32 exec_lo, exec_lo, s14
	v_lshlrev_b32_e32 v52, 9, v71
	v_cmp_ne_u32_e32 vcc_lo, v64, v52
	s_and_b32 exec_lo, exec_lo, vcc_lo
	s_cbranch_execz .LBB4_364
; %bb.361:                              ;   in Loop: Header=BB4_268 Depth=4
	v_add_nc_u32_e32 v53, v65, v67
	v_lshlrev_b32_e32 v54, 5, v66
	v_and_b32_e32 v53, 0xffffffe0, v53
	v_sub_nc_u32_e32 v53, v65, v53
	v_sub_nc_u32_e32 v53, v53, v54
	v_add_nc_u32_e32 v55, v52, v53
	v_sub_nc_u32_e32 v54, v64, v55
	v_cmp_lt_i32_e32 vcc_lo, 0, v54
	s_and_b32 exec_lo, exec_lo, vcc_lo
	s_cbranch_execz .LBB4_364
; %bb.362:                              ;   in Loop: Header=BB4_268 Depth=4
	s_trap 2
	ds_read_b64 v[52:53], v0
	v_add_nc_u32_e32 v27, v55, v27
	s_mov_b32 s47, 0
	v_ashrrev_i32_e32 v55, 31, v27
	.p2align	6
.LBB4_363:                              ;   Parent Loop BB4_53 Depth=1
                                        ;     Parent Loop BB4_89 Depth=2
                                        ;       Parent Loop BB4_265 Depth=3
                                        ;         Parent Loop BB4_268 Depth=4
                                        ; =>        This Inner Loop Header: Depth=5
	s_waitcnt lgkmcnt(0)
	v_add_co_u32 v64, vcc_lo, v52, v27
	v_add_co_ci_u32_e64 v65, null, v53, v55, vcc_lo
	v_sub_nc_u32_e32 v54, v54, v103
	v_add_co_u32 v27, s14, v27, v103
	flat_load_ubyte v66, v[64:65] slc
	v_add_co_ci_u32_e64 v55, null, 0, v55, s14
	v_cmp_gt_i32_e32 vcc_lo, 1, v54
	s_or_b32 s47, vcc_lo, s47
	s_waitcnt vmcnt(0) lgkmcnt(0)
	flat_store_byte v[64:65], v66 glc slc
	s_andn2_b32 exec_lo, exec_lo, s47
	s_cbranch_execnz .LBB4_363
.LBB4_364:                              ;   in Loop: Header=BB4_268 Depth=4
	s_or_b32 exec_lo, exec_lo, s15
	v_cmp_lt_i32_e64 s14, 0, v9
	s_and_saveexec_b32 s15, s5
	s_cbranch_execz .LBB4_383
.LBB4_365:                              ;   in Loop: Header=BB4_268 Depth=4
	s_and_saveexec_b32 s47, s24
	s_xor_b32 s47, exec_lo, s47
	s_cbranch_execz .LBB4_380
; %bb.366:                              ;   in Loop: Header=BB4_268 Depth=4
	s_and_saveexec_b32 s56, s7
	s_cbranch_execz .LBB4_379
; %bb.367:                              ;   in Loop: Header=BB4_268 Depth=4
	s_mov_b32 s58, exec_lo
	s_mov_b32 s57, exec_lo
	v_mbcnt_lo_u32_b32 v9, s58, 0
	s_waitcnt vmcnt(0) lgkmcnt(0)
	s_waitcnt_vscnt null, 0x0
	buffer_gl1_inv
	buffer_gl0_inv
	v_cmpx_eq_u32_e32 0, v9
	s_cbranch_execz .LBB4_369
; %bb.368:                              ;   in Loop: Header=BB4_268 Depth=4
	s_bcnt1_i32_b32 s58, s58
	v_mov_b32_e32 v53, v26
	v_mov_b32_e32 v52, s58
	ds_add_u64 v0, v[52:53]
	s_trap 2
.LBB4_369:                              ;   in Loop: Header=BB4_268 Depth=4
	s_or_b32 exec_lo, exec_lo, s57
	s_trap 2
	ds_read_b64 v[52:53], v0
	s_waitcnt lgkmcnt(0)
	buffer_gl0_inv
	v_add_co_u32 v10, vcc_lo, v10, v97
	v_add_co_ci_u32_e64 v11, null, 0, v11, vcc_lo
	s_mov_b32 s57, exec_lo
	v_cmpx_lt_u64_e64 v[52:53], v[10:11]
	s_cbranch_execz .LBB4_378
; %bb.370:                              ;   in Loop: Header=BB4_268 Depth=4
	s_mov_b32 s58, 0
	s_mov_b32 s61, 0
                                        ; implicit-def: $sgpr59
                                        ; implicit-def: $sgpr60
	s_inst_prefetch 0x1
	s_branch .LBB4_372
	.p2align	6
.LBB4_371:                              ;   in Loop: Header=BB4_372 Depth=5
	s_or_b32 exec_lo, exec_lo, s63
	s_and_b32 s62, exec_lo, s72
	s_or_b32 s58, s62, s58
	s_andn2_b32 s59, s59, exec_lo
	s_and_b32 s62, s60, exec_lo
	s_or_b32 s59, s59, s62
	s_andn2_b32 exec_lo, exec_lo, s58
	s_cbranch_execz .LBB4_376
.LBB4_372:                              ;   Parent Loop BB4_53 Depth=1
                                        ;     Parent Loop BB4_89 Depth=2
                                        ;       Parent Loop BB4_265 Depth=3
                                        ;         Parent Loop BB4_268 Depth=4
                                        ; =>        This Inner Loop Header: Depth=5
	s_add_i32 s61, s61, 1
	s_cmpk_lg_i32 s61, 0x2710
	s_cselect_b32 s62, -1, 0
	s_and_b32 vcc_lo, exec_lo, s62
	s_cbranch_vccz .LBB4_374
; %bb.373:                              ;   in Loop: Header=BB4_372 Depth=5
	s_mov_b32 s72, -1
	s_or_b32 s60, s60, exec_lo
	s_and_saveexec_b32 s63, s62
	s_cbranch_execz .LBB4_371
	s_branch .LBB4_375
	.p2align	6
.LBB4_374:                              ;   in Loop: Header=BB4_372 Depth=5
	s_trap 2
	ds_read_b64 v[52:53], v0
	s_andn2_b32 s62, s62, exec_lo
	s_mov_b32 s61, 0
	s_waitcnt lgkmcnt(0)
	flat_load_dword v9, v[52:53] glc dlc
	s_waitcnt vmcnt(0) lgkmcnt(0)
	buffer_gl1_inv
	buffer_gl0_inv
	v_cmp_eq_u32_e32 vcc_lo, 0, v9
	s_and_b32 s63, vcc_lo, exec_lo
	s_or_b32 s62, s62, s63
	s_mov_b32 s72, -1
	s_or_b32 s60, s60, exec_lo
	s_and_saveexec_b32 s63, s62
	s_cbranch_execz .LBB4_371
.LBB4_375:                              ;   in Loop: Header=BB4_372 Depth=5
	s_sleep 1
	s_trap 2
	ds_read_b64 v[52:53], v0
	s_waitcnt lgkmcnt(0)
	buffer_gl0_inv
	s_andn2_b32 s60, s60, exec_lo
	v_cmp_ge_u64_e32 vcc_lo, v[52:53], v[10:11]
	s_orn2_b32 s72, vcc_lo, exec_lo
	s_branch .LBB4_371
.LBB4_376:                              ;   in Loop: Header=BB4_268 Depth=4
	s_inst_prefetch 0x2
	s_or_b32 exec_lo, exec_lo, s58
	s_and_saveexec_b32 s58, s59
	s_xor_b32 s58, exec_lo, s58
	s_cbranch_execz .LBB4_378
; %bb.377:                              ;   in Loop: Header=BB4_268 Depth=4
	ds_write_b32 v0, v115
	s_trap 2
.LBB4_378:                              ;   in Loop: Header=BB4_268 Depth=4
	s_or_b32 exec_lo, exec_lo, s57
	;;#ASMSTART
	s_wakeup
	;;#ASMEND
.LBB4_379:                              ;   in Loop: Header=BB4_268 Depth=4
	s_or_b32 exec_lo, exec_lo, s56
.LBB4_380:                              ;   in Loop: Header=BB4_268 Depth=4
	s_andn2_saveexec_b32 s47, s47
	s_cbranch_execz .LBB4_382
; %bb.381:                              ;   in Loop: Header=BB4_268 Depth=4
	s_waitcnt vmcnt(0) lgkmcnt(0)
	s_waitcnt_vscnt null, 0x0
	buffer_gl1_inv
	buffer_gl0_inv
	s_barrier
.LBB4_382:                              ;   in Loop: Header=BB4_268 Depth=4
	s_or_b32 exec_lo, exec_lo, s47
.LBB4_383:                              ;   in Loop: Header=BB4_268 Depth=4
	s_or_b32 exec_lo, exec_lo, s15
	v_and_b32_e32 v9, 16, v87
	v_cmp_ne_u32_e32 vcc_lo, 0, v9
	s_and_b32 s15, vcc_lo, s14
	s_and_saveexec_b32 s14, s15
	s_cbranch_execz .LBB4_385
; %bb.384:                              ;   in Loop: Header=BB4_268 Depth=4
	s_waitcnt vmcnt(0) lgkmcnt(0)
	s_waitcnt_vscnt null, 0x0
	buffer_gl1_inv
	buffer_gl0_inv
.LBB4_385:                              ;   in Loop: Header=BB4_268 Depth=4
	s_or_b32 exec_lo, exec_lo, s14
	v_cmp_ne_u32_e32 vcc_lo, 0, v9
	s_xor_b32 s14, s12, -1
	s_and_b32 s15, vcc_lo, s14
	s_and_saveexec_b32 s14, s15
	s_cbranch_execz .LBB4_387
; %bb.386:                              ;   in Loop: Header=BB4_268 Depth=4
	s_waitcnt vmcnt(0) lgkmcnt(0)
	s_waitcnt_vscnt null, 0x0
	flat_store_dword v[20:21], v115
.LBB4_387:                              ;   in Loop: Header=BB4_268 Depth=4
	s_or_b32 exec_lo, exec_lo, s14
	v_and_b32_e32 v9, 48, v87
	s_mov_b32 s14, exec_lo
	v_cmpx_ne_u32_e32 0, v9
	s_cbranch_execz .LBB4_267
; %bb.388:                              ;   in Loop: Header=BB4_268 Depth=4
	v_add_co_u32 v48, vcc_lo, v48, 2
	v_add_co_ci_u32_e64 v49, null, 0, v49, vcc_lo
	s_waitcnt vmcnt(0) lgkmcnt(0)
	s_waitcnt_vscnt null, 0x0
	flat_store_dwordx2 v[16:17], v[48:49]
	s_branch .LBB4_267
.LBB4_389:                              ;   in Loop: Header=BB4_265 Depth=3
	s_or_b32 exec_lo, exec_lo, s44
.LBB4_390:                              ;   in Loop: Header=BB4_265 Depth=3
	s_or_b32 exec_lo, exec_lo, s43
	s_mov_b32 s15, exec_lo
	v_cmpx_gt_i32_e32 2, v9
	s_cbranch_execz .LBB4_264
; %bb.391:                              ;   in Loop: Header=BB4_265 Depth=3
	v_cmp_eq_u32_e64 s44, 0, v9
	s_mov_b32 s43, 0
	s_branch .LBB4_393
.LBB4_392:                              ;   in Loop: Header=BB4_393 Depth=4
	s_or_b32 exec_lo, exec_lo, s14
	v_add_nc_u32_e32 v70, v8, v70
	s_mov_b32 s44, 0
	s_andn2_b32 exec_lo, exec_lo, s43
	s_cbranch_execz .LBB4_263
.LBB4_393:                              ;   Parent Loop BB4_53 Depth=1
                                        ;     Parent Loop BB4_89 Depth=2
                                        ;       Parent Loop BB4_265 Depth=3
                                        ; =>      This Loop Header: Depth=4
                                        ;           Child Loop BB4_399 Depth 5
                                        ;           Child Loop BB4_427 Depth 5
	v_sub_nc_u32_e32 v9, v68, v70
	v_and_b32_e32 v27, 12, v87
	s_mov_b32 s45, exec_lo
	v_min_i32_e32 v8, v8, v9
	v_cmpx_ne_u32_e32 0, v27
	s_cbranch_execz .LBB4_419
; %bb.394:                              ;   in Loop: Header=BB4_393 Depth=4
	v_and_b32_e32 v27, 8, v87
	s_mov_b32 s46, exec_lo
	s_waitcnt vmcnt(0)
	v_add_co_u32 v54, vcc_lo, v22, v27
	v_add_co_ci_u32_e64 v55, null, 0, v23, vcc_lo
	v_add_co_u32 v52, vcc_lo, v48, 2
	v_add_co_ci_u32_e64 v53, null, 0, v49, vcc_lo
	v_cmpx_lt_u64_e64 v[54:55], v[52:53]
	s_cbranch_execz .LBB4_406
; %bb.395:                              ;   in Loop: Header=BB4_393 Depth=4
	v_and_b32_e32 v9, 64, v87
	s_mov_b32 s47, 0
	s_mov_b32 s59, 0
                                        ; implicit-def: $sgpr56
                                        ; implicit-def: $sgpr57
                                        ; implicit-def: $sgpr58
	v_cmp_eq_u32_e32 vcc_lo, 0, v9
	s_branch .LBB4_399
.LBB4_396:                              ;   in Loop: Header=BB4_399 Depth=5
	s_waitcnt vmcnt(0) lgkmcnt(0)
	v_add_co_u32 v54, s14, v22, v27
	v_add_co_ci_u32_e64 v55, null, 0, v23, s14
	s_or_b32 s62, s62, exec_lo
	v_cmp_ge_u64_e64 s14, v[54:55], v[52:53]
	s_orn2_b32 s61, s14, exec_lo
.LBB4_397:                              ;   in Loop: Header=BB4_399 Depth=5
	s_or_b32 exec_lo, exec_lo, s72
	s_andn2_b32 s14, s58, exec_lo
	s_and_b32 s58, s62, exec_lo
	s_andn2_b32 s57, s57, exec_lo
	s_and_b32 s61, s61, exec_lo
	s_or_b32 s58, s14, s58
	s_or_b32 s57, s57, s61
.LBB4_398:                              ;   in Loop: Header=BB4_399 Depth=5
	s_or_b32 exec_lo, exec_lo, s60
	s_and_b32 s14, exec_lo, s57
	s_or_b32 s47, s14, s47
	s_andn2_b32 s14, s56, exec_lo
	s_and_b32 s56, s58, exec_lo
	s_or_b32 s56, s14, s56
	s_andn2_b32 exec_lo, exec_lo, s47
	s_cbranch_execz .LBB4_403
.LBB4_399:                              ;   Parent Loop BB4_53 Depth=1
                                        ;     Parent Loop BB4_89 Depth=2
                                        ;       Parent Loop BB4_265 Depth=3
                                        ;         Parent Loop BB4_393 Depth=4
                                        ; =>        This Inner Loop Header: Depth=5
	s_sleep 1
	s_waitcnt vmcnt(0) lgkmcnt(0)
	flat_load_dwordx2 v[22:23], v[16:17] glc dlc
	s_or_b32 s58, s58, exec_lo
	s_or_b32 s57, s57, exec_lo
                                        ; implicit-def: $vgpr9
	s_and_saveexec_b32 s60, vcc_lo
	s_cbranch_execz .LBB4_398
; %bb.400:                              ;   in Loop: Header=BB4_399 Depth=5
	s_cmpk_lt_i32 s59, 0x270f
	s_mov_b32 s61, -1
	s_cselect_b32 s63, -1, 0
	s_cmpk_gt_i32 s59, 0x270e
	s_cbranch_scc0 .LBB4_402
; %bb.401:                              ;   in Loop: Header=BB4_399 Depth=5
	s_trap 2
	ds_read_b64 v[54:55], v0
	s_andn2_b32 s59, s63, exec_lo
	s_mov_b32 s62, 0
	s_waitcnt vmcnt(0) lgkmcnt(0)
	s_waitcnt_vscnt null, 0x0
	flat_load_dword v9, v[54:55] glc dlc
	s_waitcnt vmcnt(0) lgkmcnt(0)
	buffer_gl1_inv
	buffer_gl0_inv
	v_cmp_eq_u32_e64 s14, 0, v9
	s_and_b32 s14, s14, exec_lo
	s_or_b32 s63, s59, s14
	s_mov_b32 s59, 0
	s_and_saveexec_b32 s72, s63
	s_cbranch_execz .LBB4_397
	s_branch .LBB4_396
.LBB4_402:                              ;   in Loop: Header=BB4_399 Depth=5
	s_add_i32 s59, s59, 1
	s_mov_b32 s62, -1
                                        ; implicit-def: $vgpr9
	s_and_saveexec_b32 s72, s63
	s_cbranch_execz .LBB4_397
	s_branch .LBB4_396
.LBB4_403:                              ;   in Loop: Header=BB4_393 Depth=4
	s_or_b32 exec_lo, exec_lo, s47
	s_xor_b32 s14, s56, -1
	s_and_saveexec_b32 s47, s14
	s_xor_b32 s14, exec_lo, s47
	s_cbranch_execz .LBB4_405
; %bb.404:                              ;   in Loop: Header=BB4_393 Depth=4
	v_or_b32_e32 v87, 64, v87
	s_waitcnt vmcnt(0) lgkmcnt(0)
	s_waitcnt_vscnt null, 0x0
	ds_write_b32 v0, v9
	s_trap 2
.LBB4_405:                              ;   in Loop: Header=BB4_393 Depth=4
	s_or_b32 exec_lo, exec_lo, s14
.LBB4_406:                              ;   in Loop: Header=BB4_393 Depth=4
	s_or_b32 exec_lo, exec_lo, s46
	v_and_b32_e32 v9, 0x108, v87
	v_and_b32_e32 v64, 7, v48
	s_mov_b32 s14, exec_lo
	;;#ASMSTART
	s_wakeup
	;;#ASMEND
	v_cmpx_ne_u32_e32 0x108, v9
	s_xor_b32 s14, exec_lo, s14
                                        ; implicit-def: $vgpr65
; %bb.407:                              ;   in Loop: Header=BB4_393 Depth=4
	v_mov_b32_e32 v65, v26
; %bb.408:                              ;   in Loop: Header=BB4_393 Depth=4
	s_andn2_saveexec_b32 s14, s14
	s_cbranch_execz .LBB4_410
; %bb.409:                              ;   in Loop: Header=BB4_393 Depth=4
	v_mad_u64_u32 v[48:49], null, v64, 24, v[4:5]
	v_ashrrev_i32_e32 v9, 31, v8
	v_mov_b32_e32 v65, v26
	flat_store_dwordx2 v[48:49], v[8:9] offset:8
.LBB4_410:                              ;   in Loop: Header=BB4_393 Depth=4
	s_or_b32 exec_lo, exec_lo, s14
	v_and_b32_e32 v9, 0x100, v87
	s_mov_b32 s14, -1
	s_mov_b32 s46, exec_lo
                                        ; implicit-def: $vgpr48_vgpr49
	v_cmpx_ne_u32_e32 0, v9
	s_cbranch_execz .LBB4_414
; %bb.411:                              ;   in Loop: Header=BB4_393 Depth=4
	v_mad_u64_u32 v[54:55], null, v64, 24, v[4:5]
	s_mov_b32 s47, exec_lo
	v_mov_b32_e32 v9, v55
	v_mad_u64_u32 v[48:49], null, v65, 24, v[9:10]
	v_mov_b32_e32 v55, v48
                                        ; implicit-def: $vgpr48_vgpr49
	flat_load_dword v9, v[54:55]
	s_waitcnt vmcnt(0) lgkmcnt(0)
	v_cmp_ne_u32_e32 vcc_lo, 1, v9
	v_cmpx_eq_u32_e32 1, v9
	s_cbranch_execz .LBB4_413
; %bb.412:                              ;   in Loop: Header=BB4_393 Depth=4
	flat_load_dword v48, v[54:55] offset:4 glc dlc
	s_waitcnt vmcnt(0) lgkmcnt(0)
	v_ashrrev_i32_e32 v49, 31, v48
.LBB4_413:                              ;   in Loop: Header=BB4_393 Depth=4
	s_or_b32 exec_lo, exec_lo, s47
	s_orn2_b32 s14, vcc_lo, exec_lo
.LBB4_414:                              ;   in Loop: Header=BB4_393 Depth=4
	s_or_b32 exec_lo, exec_lo, s46
	s_and_saveexec_b32 s46, s14
; %bb.415:                              ;   in Loop: Header=BB4_393 Depth=4
	v_mul_lo_u32 v9, v65, v96
	v_mul_lo_u32 v54, v64, v112
	v_mad_u64_u32 v[48:49], null, v64, v96, 0
	v_add3_u32 v49, v49, v54, v9
; %bb.416:                              ;   in Loop: Header=BB4_393 Depth=4
	s_or_b32 exec_lo, exec_lo, s46
	v_cmp_eq_u32_e32 vcc_lo, 0, v27
	v_and_b32_e32 v27, 0x2000, v87
	s_mov_b32 s14, exec_lo
	v_cndmask_b32_e32 v9, 0xc8, v116, vcc_lo
	v_add_co_u32 v48, vcc_lo, v18, v48
	v_add_co_ci_u32_e64 v49, null, v19, v49, vcc_lo
	v_add_nc_u32_e32 v9, v0, v9
	ds_write_b64 v9, v[48:49] offset:584
	v_cmpx_ne_u32_e32 0, v27
	s_cbranch_execz .LBB4_418
; %bb.417:                              ;   in Loop: Header=BB4_393 Depth=4
	ds_read_b64 v[48:49], v0 offset:872
	s_waitcnt lgkmcnt(0)
	v_add_co_u32 v48, vcc_lo, v48, 1
	v_add_co_ci_u32_e64 v49, null, 0, v49, vcc_lo
	ds_write_b64 v0, v[48:49] offset:872
.LBB4_418:                              ;   in Loop: Header=BB4_393 Depth=4
	s_or_b32 exec_lo, exec_lo, s14
	v_mov_b32_e32 v48, v52
	v_mov_b32_e32 v49, v53
.LBB4_419:                              ;   in Loop: Header=BB4_393 Depth=4
	s_or_b32 exec_lo, exec_lo, s45
	s_xor_b32 s14, s44, -1
	s_and_b32 s14, exec_lo, s14
	s_or_b32 s43, s14, s43
	s_and_saveexec_b32 s14, s5
	s_cbranch_execz .LBB4_438
; %bb.420:                              ;   in Loop: Header=BB4_393 Depth=4
	s_and_saveexec_b32 s44, s24
	s_xor_b32 s44, exec_lo, s44
	s_cbranch_execz .LBB4_435
; %bb.421:                              ;   in Loop: Header=BB4_393 Depth=4
	s_and_saveexec_b32 s45, s7
	s_cbranch_execz .LBB4_434
; %bb.422:                              ;   in Loop: Header=BB4_393 Depth=4
	s_mov_b32 s47, exec_lo
	s_mov_b32 s46, exec_lo
	v_mbcnt_lo_u32_b32 v9, s47, 0
	s_waitcnt vmcnt(0) lgkmcnt(0)
	s_waitcnt_vscnt null, 0x0
	buffer_gl1_inv
	buffer_gl0_inv
	v_cmpx_eq_u32_e32 0, v9
	s_cbranch_execz .LBB4_424
; %bb.423:                              ;   in Loop: Header=BB4_393 Depth=4
	s_bcnt1_i32_b32 s47, s47
	v_mov_b32_e32 v53, v26
	v_mov_b32_e32 v52, s47
	ds_add_u64 v0, v[52:53]
	s_trap 2
.LBB4_424:                              ;   in Loop: Header=BB4_393 Depth=4
	s_or_b32 exec_lo, exec_lo, s46
	s_trap 2
	ds_read_b64 v[52:53], v0
	s_waitcnt lgkmcnt(0)
	buffer_gl0_inv
	v_add_co_u32 v10, vcc_lo, v10, v97
	v_add_co_ci_u32_e64 v11, null, 0, v11, vcc_lo
	s_mov_b32 s46, exec_lo
	v_cmpx_lt_u64_e64 v[52:53], v[10:11]
	s_cbranch_execz .LBB4_433
; %bb.425:                              ;   in Loop: Header=BB4_393 Depth=4
	s_mov_b32 s47, 0
	s_mov_b32 s58, 0
                                        ; implicit-def: $sgpr56
                                        ; implicit-def: $sgpr57
	s_inst_prefetch 0x1
	s_branch .LBB4_427
	.p2align	6
.LBB4_426:                              ;   in Loop: Header=BB4_427 Depth=5
	s_or_b32 exec_lo, exec_lo, s60
	s_and_b32 s59, exec_lo, s61
	s_or_b32 s47, s59, s47
	s_andn2_b32 s56, s56, exec_lo
	s_and_b32 s59, s57, exec_lo
	s_or_b32 s56, s56, s59
	s_andn2_b32 exec_lo, exec_lo, s47
	s_cbranch_execz .LBB4_431
.LBB4_427:                              ;   Parent Loop BB4_53 Depth=1
                                        ;     Parent Loop BB4_89 Depth=2
                                        ;       Parent Loop BB4_265 Depth=3
                                        ;         Parent Loop BB4_393 Depth=4
                                        ; =>        This Inner Loop Header: Depth=5
	s_add_i32 s58, s58, 1
	s_cmpk_lg_i32 s58, 0x2710
	s_cselect_b32 s59, -1, 0
	s_and_b32 vcc_lo, exec_lo, s59
	s_cbranch_vccz .LBB4_429
; %bb.428:                              ;   in Loop: Header=BB4_427 Depth=5
	s_mov_b32 s61, -1
	s_or_b32 s57, s57, exec_lo
	s_and_saveexec_b32 s60, s59
	s_cbranch_execz .LBB4_426
	s_branch .LBB4_430
	.p2align	6
.LBB4_429:                              ;   in Loop: Header=BB4_427 Depth=5
	s_trap 2
	ds_read_b64 v[52:53], v0
	s_andn2_b32 s59, s59, exec_lo
	s_mov_b32 s58, 0
	s_waitcnt lgkmcnt(0)
	flat_load_dword v9, v[52:53] glc dlc
	s_waitcnt vmcnt(0) lgkmcnt(0)
	buffer_gl1_inv
	buffer_gl0_inv
	v_cmp_eq_u32_e32 vcc_lo, 0, v9
	s_and_b32 s60, vcc_lo, exec_lo
	s_or_b32 s59, s59, s60
	s_mov_b32 s61, -1
	s_or_b32 s57, s57, exec_lo
	s_and_saveexec_b32 s60, s59
	s_cbranch_execz .LBB4_426
.LBB4_430:                              ;   in Loop: Header=BB4_427 Depth=5
	s_sleep 1
	s_trap 2
	ds_read_b64 v[52:53], v0
	s_waitcnt lgkmcnt(0)
	buffer_gl0_inv
	s_andn2_b32 s57, s57, exec_lo
	v_cmp_ge_u64_e32 vcc_lo, v[52:53], v[10:11]
	s_orn2_b32 s61, vcc_lo, exec_lo
	s_branch .LBB4_426
.LBB4_431:                              ;   in Loop: Header=BB4_393 Depth=4
	s_inst_prefetch 0x2
	s_or_b32 exec_lo, exec_lo, s47
	s_and_saveexec_b32 s47, s56
	s_xor_b32 s47, exec_lo, s47
	s_cbranch_execz .LBB4_433
; %bb.432:                              ;   in Loop: Header=BB4_393 Depth=4
	ds_write_b32 v0, v115
	s_trap 2
.LBB4_433:                              ;   in Loop: Header=BB4_393 Depth=4
	s_or_b32 exec_lo, exec_lo, s46
	;;#ASMSTART
	s_wakeup
	;;#ASMEND
.LBB4_434:                              ;   in Loop: Header=BB4_393 Depth=4
	s_or_b32 exec_lo, exec_lo, s45
.LBB4_435:                              ;   in Loop: Header=BB4_393 Depth=4
	s_andn2_saveexec_b32 s44, s44
	s_cbranch_execz .LBB4_437
; %bb.436:                              ;   in Loop: Header=BB4_393 Depth=4
	s_waitcnt vmcnt(0) lgkmcnt(0)
	s_waitcnt_vscnt null, 0x0
	buffer_gl1_inv
	buffer_gl0_inv
	s_barrier
.LBB4_437:                              ;   in Loop: Header=BB4_393 Depth=4
	s_or_b32 exec_lo, exec_lo, s44
.LBB4_438:                              ;   in Loop: Header=BB4_393 Depth=4
	s_or_b32 exec_lo, exec_lo, s14
	s_trap 2
	ds_read_b32 v9, v0
	v_cmp_lt_i32_e32 vcc_lo, 0, v8
	s_waitcnt lgkmcnt(0)
	v_readfirstlane_b32 s14, v9
	v_and_b32_e32 v9, 16, v87
	s_cmp_eq_u32 s14, 0
	v_cmp_ne_u32_e64 s14, 0, v9
	s_cselect_b32 s44, -1, 0
	s_and_b32 s44, vcc_lo, s44
	s_and_b32 s44, s14, s44
	s_and_saveexec_b32 s14, s44
	s_cbranch_execz .LBB4_440
; %bb.439:                              ;   in Loop: Header=BB4_393 Depth=4
	s_waitcnt vmcnt(0)
	s_waitcnt_vscnt null, 0x0
	buffer_gl1_inv
	buffer_gl0_inv
.LBB4_440:                              ;   in Loop: Header=BB4_393 Depth=4
	s_or_b32 exec_lo, exec_lo, s14
	v_cmp_ne_u32_e32 vcc_lo, 0, v9
	s_xor_b32 s14, s12, -1
	s_and_b32 s44, vcc_lo, s14
	s_and_saveexec_b32 s14, s44
	s_cbranch_execz .LBB4_442
; %bb.441:                              ;   in Loop: Header=BB4_393 Depth=4
	s_waitcnt vmcnt(0)
	s_waitcnt_vscnt null, 0x0
	flat_store_dword v[20:21], v115
.LBB4_442:                              ;   in Loop: Header=BB4_393 Depth=4
	s_or_b32 exec_lo, exec_lo, s14
	v_and_b32_e32 v9, 48, v87
	s_mov_b32 s14, exec_lo
	v_cmpx_ne_u32_e32 0, v9
	s_cbranch_execz .LBB4_392
; %bb.443:                              ;   in Loop: Header=BB4_393 Depth=4
	v_add_co_u32 v48, vcc_lo, v48, 2
	v_add_co_ci_u32_e64 v49, null, 0, v49, vcc_lo
	s_waitcnt vmcnt(0) lgkmcnt(0)
	s_waitcnt_vscnt null, 0x0
	flat_store_dwordx2 v[16:17], v[48:49]
	s_branch .LBB4_392
.LBB4_444:                              ;   in Loop: Header=BB4_89 Depth=2
	v_add_co_u32 v68, vcc_lo, v6, v119
	v_add_co_ci_u32_e64 v69, null, v7, v40, vcc_lo
	v_mov_b32_e32 v67, 0
	v_max_i32_e32 v27, 0, v68
	v_cmp_lt_i32_e32 vcc_lo, 0, v68
	v_add_nc_u32_e32 v8, 31, v27
	s_and_b32 s14, s26, vcc_lo
	v_lshrrev_b32_e32 v8, 1, v8
	v_and_b32_e32 v9, 0x3ffffff0, v8
	v_mov_b32_e32 v8, 0
	v_max_i32_e32 v66, s23, v9
	s_and_saveexec_b32 s41, s14
	s_cbranch_execz .LBB4_563
; %bb.445:                              ;   in Loop: Header=BB4_89 Depth=2
	v_mov_b32_e32 v67, 0
	s_mov_b32 s44, 1
	s_mov_b32 s43, -1
	s_mov_b32 s42, 0
	s_branch .LBB4_447
.LBB4_446:                              ;   in Loop: Header=BB4_447 Depth=3
	s_or_b32 exec_lo, exec_lo, s14
	v_add_nc_u32_e32 v67, v66, v67
	s_xor_b32 s14, s43, -1
	v_mov_b32_e32 v8, s44
	s_mov_b32 s43, 0
	s_mov_b32 s44, 2
	v_cmp_ge_i32_e32 vcc_lo, v67, v27
	s_or_b32 s14, s14, vcc_lo
	s_and_b32 s14, exec_lo, s14
	s_or_b32 s42, s14, s42
	s_andn2_b32 exec_lo, exec_lo, s42
	s_cbranch_execz .LBB4_562
.LBB4_447:                              ;   Parent Loop BB4_53 Depth=1
                                        ;     Parent Loop BB4_89 Depth=2
                                        ; =>    This Loop Header: Depth=3
                                        ;         Child Loop BB4_455 Depth 4
                                        ;         Child Loop BB4_479 Depth 4
	;; [unrolled: 1-line block ×8, first 2 shown]
	s_and_saveexec_b32 s15, s4
	s_cbranch_execz .LBB4_449
; %bb.448:                              ;   in Loop: Header=BB4_447 Depth=3
	s_trap 2
	ds_read_b128 v[52:55], v0
	v_ashrrev_i32_e32 v9, 31, v67
	s_waitcnt lgkmcnt(0)
	v_add_co_u32 v8, vcc_lo, v54, v68
	v_add_co_ci_u32_e64 v64, null, v55, v69, vcc_lo
	v_add_co_u32 v52, vcc_lo, v52, v68
	v_add_co_ci_u32_e64 v53, null, v53, v69, vcc_lo
	v_add_co_u32 v65, vcc_lo, v8, v67
	v_add_co_ci_u32_e64 v64, null, v64, v9, vcc_lo
	v_cmp_ne_u64_e32 vcc_lo, 0, v[54:55]
	v_add_co_u32 v8, s14, v52, v67
	v_add_co_ci_u32_e64 v9, null, v53, v9, s14
	v_cndmask_b32_e32 v53, 0, v64, vcc_lo
	v_cndmask_b32_e32 v52, 0, v65, vcc_lo
	ds_write_b64 v0, v[8:9]
	ds_write_b64 v0, v[52:53]
.LBB4_449:                              ;   in Loop: Header=BB4_447 Depth=3
	s_or_b32 exec_lo, exec_lo, s15
	v_and_b32_e32 v8, 4, v87
	s_mov_b32 s15, exec_lo
	v_cmpx_ne_u32_e32 0, v8
	s_cbranch_execz .LBB4_471
; %bb.450:                              ;   in Loop: Header=BB4_447 Depth=3
	v_add_co_u32 v8, vcc_lo, v48, 2
	v_add_co_ci_u32_e64 v9, null, 0, v49, vcc_lo
	s_mov_b32 s45, exec_lo
	s_waitcnt vmcnt(0)
	v_cmpx_lt_u64_e64 v[22:23], v[8:9]
	s_cbranch_execz .LBB4_462
; %bb.451:                              ;   in Loop: Header=BB4_447 Depth=3
	v_and_b32_e32 v22, 64, v87
	s_mov_b32 s46, 0
	s_mov_b32 s58, 0
                                        ; implicit-def: $sgpr47
                                        ; implicit-def: $sgpr56
                                        ; implicit-def: $sgpr57
	v_cmp_eq_u32_e32 vcc_lo, 0, v22
	s_branch .LBB4_455
.LBB4_452:                              ;   in Loop: Header=BB4_455 Depth=4
	s_waitcnt vmcnt(0) lgkmcnt(0)
	v_cmp_ge_u64_e64 s14, v[22:23], v[8:9]
	s_or_b32 s61, s61, exec_lo
	s_orn2_b32 s60, s14, exec_lo
.LBB4_453:                              ;   in Loop: Header=BB4_455 Depth=4
	s_or_b32 exec_lo, exec_lo, s63
	s_andn2_b32 s14, s57, exec_lo
	s_and_b32 s57, s61, exec_lo
	s_andn2_b32 s56, s56, exec_lo
	s_and_b32 s60, s60, exec_lo
	s_or_b32 s57, s14, s57
	s_or_b32 s56, s56, s60
.LBB4_454:                              ;   in Loop: Header=BB4_455 Depth=4
	s_or_b32 exec_lo, exec_lo, s59
	s_and_b32 s14, exec_lo, s56
	s_or_b32 s46, s14, s46
	s_andn2_b32 s14, s47, exec_lo
	s_and_b32 s47, s57, exec_lo
	s_or_b32 s47, s14, s47
	s_andn2_b32 exec_lo, exec_lo, s46
	s_cbranch_execz .LBB4_459
.LBB4_455:                              ;   Parent Loop BB4_53 Depth=1
                                        ;     Parent Loop BB4_89 Depth=2
                                        ;       Parent Loop BB4_447 Depth=3
                                        ; =>      This Inner Loop Header: Depth=4
	s_sleep 1
	s_waitcnt vmcnt(0) lgkmcnt(0)
	flat_load_dwordx2 v[22:23], v[16:17] glc dlc
	s_or_b32 s57, s57, exec_lo
	s_or_b32 s56, s56, exec_lo
                                        ; implicit-def: $vgpr49
	s_and_saveexec_b32 s59, vcc_lo
	s_cbranch_execz .LBB4_454
; %bb.456:                              ;   in Loop: Header=BB4_455 Depth=4
	s_cmpk_lt_i32 s58, 0x270f
	s_mov_b32 s60, -1
	s_cselect_b32 s62, -1, 0
	s_cmpk_gt_i32 s58, 0x270e
	s_cbranch_scc0 .LBB4_458
; %bb.457:                              ;   in Loop: Header=BB4_455 Depth=4
	s_trap 2
	ds_read_b64 v[52:53], v0
	s_andn2_b32 s58, s62, exec_lo
	s_mov_b32 s61, 0
	s_waitcnt vmcnt(0) lgkmcnt(0)
	s_waitcnt_vscnt null, 0x0
	flat_load_dword v49, v[52:53] glc dlc
	s_waitcnt vmcnt(0) lgkmcnt(0)
	buffer_gl1_inv
	buffer_gl0_inv
	v_cmp_eq_u32_e64 s14, 0, v49
	s_and_b32 s14, s14, exec_lo
	s_or_b32 s62, s58, s14
	s_mov_b32 s58, 0
	s_and_saveexec_b32 s63, s62
	s_cbranch_execz .LBB4_453
	s_branch .LBB4_452
.LBB4_458:                              ;   in Loop: Header=BB4_455 Depth=4
	s_add_i32 s58, s58, 1
	s_mov_b32 s61, -1
                                        ; implicit-def: $vgpr49
	s_and_saveexec_b32 s63, s62
	s_cbranch_execz .LBB4_453
	s_branch .LBB4_452
.LBB4_459:                              ;   in Loop: Header=BB4_447 Depth=3
	s_or_b32 exec_lo, exec_lo, s46
	s_xor_b32 s14, s47, -1
	s_and_saveexec_b32 s46, s14
	s_xor_b32 s14, exec_lo, s46
	s_cbranch_execz .LBB4_461
; %bb.460:                              ;   in Loop: Header=BB4_447 Depth=3
	v_or_b32_e32 v87, 64, v87
	s_waitcnt vmcnt(0) lgkmcnt(0)
	s_waitcnt_vscnt null, 0x0
	ds_write_b32 v0, v49
	s_trap 2
.LBB4_461:                              ;   in Loop: Header=BB4_447 Depth=3
	s_or_b32 exec_lo, exec_lo, s14
.LBB4_462:                              ;   in Loop: Header=BB4_447 Depth=3
	s_or_b32 exec_lo, exec_lo, s45
	v_and_b32_e32 v49, 0x100, v87
	v_and_b32_e32 v54, 7, v48
	s_mov_b32 s14, -1
	;;#ASMSTART
	s_wakeup
	;;#ASMEND
	v_cmp_ne_u32_e32 vcc_lo, 0, v49
                                        ; implicit-def: $vgpr48_vgpr49
	s_and_saveexec_b32 s45, vcc_lo
	s_cbranch_execz .LBB4_466
; %bb.463:                              ;   in Loop: Header=BB4_447 Depth=3
	v_mad_u64_u32 v[52:53], null, v54, 24, v[4:5]
	flat_load_dword v48, v[52:53]
	s_waitcnt vmcnt(0) lgkmcnt(0)
	v_cmp_eq_u32_e64 s14, 1, v48
	v_cmp_ne_u32_e32 vcc_lo, 1, v48
                                        ; implicit-def: $vgpr48_vgpr49
	s_and_saveexec_b32 s46, s14
	s_cbranch_execz .LBB4_465
; %bb.464:                              ;   in Loop: Header=BB4_447 Depth=3
	flat_load_dword v48, v[52:53] offset:4 glc dlc
	s_waitcnt vmcnt(0) lgkmcnt(0)
	v_ashrrev_i32_e32 v49, 31, v48
.LBB4_465:                              ;   in Loop: Header=BB4_447 Depth=3
	s_or_b32 exec_lo, exec_lo, s46
	s_orn2_b32 s14, vcc_lo, exec_lo
.LBB4_466:                              ;   in Loop: Header=BB4_447 Depth=3
	s_or_b32 exec_lo, exec_lo, s45
	s_and_saveexec_b32 s45, s14
; %bb.467:                              ;   in Loop: Header=BB4_447 Depth=3
	v_mad_i64_i32 v[48:49], null, v54, v96, 0
; %bb.468:                              ;   in Loop: Header=BB4_447 Depth=3
	s_or_b32 exec_lo, exec_lo, s45
	v_add_co_u32 v48, vcc_lo, v18, v48
	v_and_b32_e32 v52, 0x2000, v87
	v_add_co_ci_u32_e64 v49, null, v19, v49, vcc_lo
	s_mov_b32 s14, exec_lo
	ds_write_b64 v0, v[48:49] offset:720
	v_cmpx_ne_u32_e32 0, v52
	s_cbranch_execz .LBB4_470
; %bb.469:                              ;   in Loop: Header=BB4_447 Depth=3
	ds_read_b64 v[48:49], v0 offset:872
	s_waitcnt lgkmcnt(0)
	v_add_co_u32 v48, vcc_lo, v48, 1
	v_add_co_ci_u32_e64 v49, null, 0, v49, vcc_lo
	ds_write_b64 v0, v[48:49] offset:872
.LBB4_470:                              ;   in Loop: Header=BB4_447 Depth=3
	s_or_b32 exec_lo, exec_lo, s14
	v_mov_b32_e32 v49, v9
	v_mov_b32_e32 v48, v8
.LBB4_471:                              ;   in Loop: Header=BB4_447 Depth=3
	s_or_b32 exec_lo, exec_lo, s15
	s_and_saveexec_b32 s14, s5
	s_cbranch_execz .LBB4_490
; %bb.472:                              ;   in Loop: Header=BB4_447 Depth=3
	s_and_saveexec_b32 s15, s24
	s_xor_b32 s15, exec_lo, s15
	s_cbranch_execz .LBB4_487
; %bb.473:                              ;   in Loop: Header=BB4_447 Depth=3
	s_and_saveexec_b32 s45, s7
	s_cbranch_execz .LBB4_486
; %bb.474:                              ;   in Loop: Header=BB4_447 Depth=3
	s_mov_b32 s47, exec_lo
	s_mov_b32 s46, exec_lo
	v_mbcnt_lo_u32_b32 v8, s47, 0
	s_waitcnt vmcnt(0) lgkmcnt(0)
	s_waitcnt_vscnt null, 0x0
	buffer_gl1_inv
	buffer_gl0_inv
	v_cmpx_eq_u32_e32 0, v8
	s_cbranch_execz .LBB4_476
; %bb.475:                              ;   in Loop: Header=BB4_447 Depth=3
	s_bcnt1_i32_b32 s47, s47
	v_mov_b32_e32 v9, v26
	v_mov_b32_e32 v8, s47
	ds_add_u64 v0, v[8:9]
	s_trap 2
.LBB4_476:                              ;   in Loop: Header=BB4_447 Depth=3
	s_or_b32 exec_lo, exec_lo, s46
	s_trap 2
	ds_read_b64 v[8:9], v0
	s_waitcnt lgkmcnt(0)
	buffer_gl0_inv
	v_add_co_u32 v10, vcc_lo, v10, v97
	v_add_co_ci_u32_e64 v11, null, 0, v11, vcc_lo
	s_mov_b32 s46, exec_lo
	v_cmpx_lt_u64_e64 v[8:9], v[10:11]
	s_cbranch_execz .LBB4_485
; %bb.477:                              ;   in Loop: Header=BB4_447 Depth=3
	s_mov_b32 s47, 0
	s_mov_b32 s58, 0
                                        ; implicit-def: $sgpr56
                                        ; implicit-def: $sgpr57
	s_inst_prefetch 0x1
	s_branch .LBB4_479
	.p2align	6
.LBB4_478:                              ;   in Loop: Header=BB4_479 Depth=4
	s_or_b32 exec_lo, exec_lo, s60
	s_and_b32 s59, exec_lo, s61
	s_or_b32 s47, s59, s47
	s_andn2_b32 s56, s56, exec_lo
	s_and_b32 s59, s57, exec_lo
	s_or_b32 s56, s56, s59
	s_andn2_b32 exec_lo, exec_lo, s47
	s_cbranch_execz .LBB4_483
.LBB4_479:                              ;   Parent Loop BB4_53 Depth=1
                                        ;     Parent Loop BB4_89 Depth=2
                                        ;       Parent Loop BB4_447 Depth=3
                                        ; =>      This Inner Loop Header: Depth=4
	s_add_i32 s58, s58, 1
	s_cmpk_lg_i32 s58, 0x2710
	s_cselect_b32 s59, -1, 0
	s_and_b32 vcc_lo, exec_lo, s59
	s_cbranch_vccz .LBB4_481
; %bb.480:                              ;   in Loop: Header=BB4_479 Depth=4
	s_mov_b32 s61, -1
	s_or_b32 s57, s57, exec_lo
	s_and_saveexec_b32 s60, s59
	s_cbranch_execz .LBB4_478
	s_branch .LBB4_482
	.p2align	6
.LBB4_481:                              ;   in Loop: Header=BB4_479 Depth=4
	s_trap 2
	ds_read_b64 v[8:9], v0
	s_andn2_b32 s59, s59, exec_lo
	s_mov_b32 s58, 0
	s_waitcnt lgkmcnt(0)
	flat_load_dword v8, v[8:9] glc dlc
	s_waitcnt vmcnt(0) lgkmcnt(0)
	buffer_gl1_inv
	buffer_gl0_inv
	v_cmp_eq_u32_e32 vcc_lo, 0, v8
	s_and_b32 s60, vcc_lo, exec_lo
	s_or_b32 s59, s59, s60
	s_mov_b32 s61, -1
	s_or_b32 s57, s57, exec_lo
	s_and_saveexec_b32 s60, s59
	s_cbranch_execz .LBB4_478
.LBB4_482:                              ;   in Loop: Header=BB4_479 Depth=4
	s_sleep 1
	s_trap 2
	ds_read_b64 v[8:9], v0
	s_waitcnt lgkmcnt(0)
	buffer_gl0_inv
	s_andn2_b32 s57, s57, exec_lo
	v_cmp_ge_u64_e32 vcc_lo, v[8:9], v[10:11]
	s_orn2_b32 s61, vcc_lo, exec_lo
	s_branch .LBB4_478
.LBB4_483:                              ;   in Loop: Header=BB4_447 Depth=3
	s_inst_prefetch 0x2
	s_or_b32 exec_lo, exec_lo, s47
	s_and_saveexec_b32 s47, s56
	s_xor_b32 s47, exec_lo, s47
	s_cbranch_execz .LBB4_485
; %bb.484:                              ;   in Loop: Header=BB4_447 Depth=3
	ds_write_b32 v0, v115
	s_trap 2
.LBB4_485:                              ;   in Loop: Header=BB4_447 Depth=3
	s_or_b32 exec_lo, exec_lo, s46
	;;#ASMSTART
	s_wakeup
	;;#ASMEND
.LBB4_486:                              ;   in Loop: Header=BB4_447 Depth=3
	s_or_b32 exec_lo, exec_lo, s45
.LBB4_487:                              ;   in Loop: Header=BB4_447 Depth=3
	s_andn2_saveexec_b32 s15, s15
	s_cbranch_execz .LBB4_489
; %bb.488:                              ;   in Loop: Header=BB4_447 Depth=3
	s_waitcnt vmcnt(0) lgkmcnt(0)
	s_waitcnt_vscnt null, 0x0
	buffer_gl1_inv
	buffer_gl0_inv
	s_barrier
.LBB4_489:                              ;   in Loop: Header=BB4_447 Depth=3
	s_or_b32 exec_lo, exec_lo, s15
.LBB4_490:                              ;   in Loop: Header=BB4_447 Depth=3
	s_or_b32 exec_lo, exec_lo, s14
	s_trap 2
	ds_read_b32 v54, v0
	v_and_b32_e32 v8, 0x4000, v87
	s_xor_b32 s14, s10, -1
	v_cmp_ne_u32_e32 vcc_lo, 0, v8
	s_and_b32 s15, s14, vcc_lo
	s_and_saveexec_b32 s14, s15
	s_cbranch_execz .LBB4_509
; %bb.491:                              ;   in Loop: Header=BB4_447 Depth=3
	s_and_saveexec_b32 s15, s24
	s_xor_b32 s15, exec_lo, s15
	s_cbranch_execz .LBB4_506
; %bb.492:                              ;   in Loop: Header=BB4_447 Depth=3
	s_and_saveexec_b32 s45, s7
	s_cbranch_execz .LBB4_505
; %bb.493:                              ;   in Loop: Header=BB4_447 Depth=3
	s_mov_b32 s47, exec_lo
	s_mov_b32 s46, exec_lo
	v_mbcnt_lo_u32_b32 v8, s47, 0
	s_waitcnt vmcnt(0) lgkmcnt(0)
	s_waitcnt_vscnt null, 0x0
	buffer_gl1_inv
	buffer_gl0_inv
	v_cmpx_eq_u32_e32 0, v8
	s_cbranch_execz .LBB4_495
; %bb.494:                              ;   in Loop: Header=BB4_447 Depth=3
	s_bcnt1_i32_b32 s47, s47
	v_mov_b32_e32 v9, v26
	v_mov_b32_e32 v8, s47
	ds_add_u64 v0, v[8:9]
	s_trap 2
.LBB4_495:                              ;   in Loop: Header=BB4_447 Depth=3
	s_or_b32 exec_lo, exec_lo, s46
	s_trap 2
	ds_read_b64 v[8:9], v0
	s_waitcnt lgkmcnt(0)
	buffer_gl0_inv
	v_add_co_u32 v10, vcc_lo, v10, v97
	v_add_co_ci_u32_e64 v11, null, 0, v11, vcc_lo
	s_mov_b32 s46, exec_lo
	v_cmpx_lt_u64_e64 v[8:9], v[10:11]
	s_cbranch_execz .LBB4_504
; %bb.496:                              ;   in Loop: Header=BB4_447 Depth=3
	s_mov_b32 s47, 0
	s_mov_b32 s58, 0
                                        ; implicit-def: $sgpr56
                                        ; implicit-def: $sgpr57
	s_inst_prefetch 0x1
	s_branch .LBB4_498
	.p2align	6
.LBB4_497:                              ;   in Loop: Header=BB4_498 Depth=4
	s_or_b32 exec_lo, exec_lo, s60
	s_and_b32 s59, exec_lo, s61
	s_or_b32 s47, s59, s47
	s_andn2_b32 s56, s56, exec_lo
	s_and_b32 s59, s57, exec_lo
	s_or_b32 s56, s56, s59
	s_andn2_b32 exec_lo, exec_lo, s47
	s_cbranch_execz .LBB4_502
.LBB4_498:                              ;   Parent Loop BB4_53 Depth=1
                                        ;     Parent Loop BB4_89 Depth=2
                                        ;       Parent Loop BB4_447 Depth=3
                                        ; =>      This Inner Loop Header: Depth=4
	s_add_i32 s58, s58, 1
	s_cmpk_lg_i32 s58, 0x2710
	s_cselect_b32 s59, -1, 0
	s_and_b32 vcc_lo, exec_lo, s59
	s_cbranch_vccz .LBB4_500
; %bb.499:                              ;   in Loop: Header=BB4_498 Depth=4
	s_mov_b32 s61, -1
	s_or_b32 s57, s57, exec_lo
	s_and_saveexec_b32 s60, s59
	s_cbranch_execz .LBB4_497
	s_branch .LBB4_501
	.p2align	6
.LBB4_500:                              ;   in Loop: Header=BB4_498 Depth=4
	s_trap 2
	ds_read_b64 v[8:9], v0
	s_andn2_b32 s59, s59, exec_lo
	s_mov_b32 s58, 0
	s_waitcnt lgkmcnt(0)
	flat_load_dword v8, v[8:9] glc dlc
	s_waitcnt vmcnt(0) lgkmcnt(0)
	buffer_gl1_inv
	buffer_gl0_inv
	v_cmp_eq_u32_e32 vcc_lo, 0, v8
	s_and_b32 s60, vcc_lo, exec_lo
	s_or_b32 s59, s59, s60
	s_mov_b32 s61, -1
	s_or_b32 s57, s57, exec_lo
	s_and_saveexec_b32 s60, s59
	s_cbranch_execz .LBB4_497
.LBB4_501:                              ;   in Loop: Header=BB4_498 Depth=4
	s_sleep 1
	s_trap 2
	ds_read_b64 v[8:9], v0
	s_waitcnt lgkmcnt(0)
	buffer_gl0_inv
	s_andn2_b32 s57, s57, exec_lo
	v_cmp_ge_u64_e32 vcc_lo, v[8:9], v[10:11]
	s_orn2_b32 s61, vcc_lo, exec_lo
	s_branch .LBB4_497
.LBB4_502:                              ;   in Loop: Header=BB4_447 Depth=3
	s_inst_prefetch 0x2
	s_or_b32 exec_lo, exec_lo, s47
	s_and_saveexec_b32 s47, s56
	s_xor_b32 s47, exec_lo, s47
	s_cbranch_execz .LBB4_504
; %bb.503:                              ;   in Loop: Header=BB4_447 Depth=3
	ds_write_b32 v0, v115
	s_trap 2
.LBB4_504:                              ;   in Loop: Header=BB4_447 Depth=3
	s_or_b32 exec_lo, exec_lo, s46
	;;#ASMSTART
	s_wakeup
	;;#ASMEND
.LBB4_505:                              ;   in Loop: Header=BB4_447 Depth=3
	s_or_b32 exec_lo, exec_lo, s45
.LBB4_506:                              ;   in Loop: Header=BB4_447 Depth=3
	s_andn2_saveexec_b32 s15, s15
	s_cbranch_execz .LBB4_508
; %bb.507:                              ;   in Loop: Header=BB4_447 Depth=3
	s_waitcnt vmcnt(0) lgkmcnt(0)
	s_waitcnt_vscnt null, 0x0
	buffer_gl1_inv
	buffer_gl0_inv
	s_barrier
.LBB4_508:                              ;   in Loop: Header=BB4_447 Depth=3
	s_or_b32 exec_lo, exec_lo, s15
.LBB4_509:                              ;   in Loop: Header=BB4_447 Depth=3
	s_or_b32 exec_lo, exec_lo, s14
	s_trap 2
	ds_read_b64 v[8:9], v0
	v_sub_nc_u32_e32 v52, v27, v67
	v_min_i32_e32 v66, v66, v52
	s_waitcnt lgkmcnt(0)
	v_cmp_eq_u64_e32 vcc_lo, 0, v[8:9]
	s_cbranch_vccnz .LBB4_517
; %bb.510:                              ;   in Loop: Header=BB4_447 Depth=3
	s_trap 2
	ds_read_b64 v[52:53], v0
	s_waitcnt lgkmcnt(0)
	v_cmp_eq_u64_e32 vcc_lo, 0, v[52:53]
	s_cbranch_vccnz .LBB4_517
; %bb.511:                              ;   in Loop: Header=BB4_447 Depth=3
	s_mov_b32 s14, -1
	s_and_saveexec_b32 s15, s11
	s_cbranch_execz .LBB4_513
; %bb.512:                              ;   in Loop: Header=BB4_447 Depth=3
	ds_read_b32 v55, v0 offset:720
	s_waitcnt lgkmcnt(0)
	v_and_b32_e32 v55, 15, v55
	v_cmp_eq_u32_e32 vcc_lo, 0, v55
	s_orn2_b32 s14, vcc_lo, exec_lo
.LBB4_513:                              ;   in Loop: Header=BB4_447 Depth=3
	s_or_b32 exec_lo, exec_lo, s15
	s_and_saveexec_b32 s15, s6
	s_cbranch_execz .LBB4_515
; %bb.514:                              ;   in Loop: Header=BB4_447 Depth=3
	ds_read_b32 v55, v0 offset:784
	s_waitcnt lgkmcnt(0)
	v_and_b32_e32 v55, 15, v55
	v_cmp_eq_u32_e32 vcc_lo, 0, v55
	s_and_b32 s45, s14, vcc_lo
	s_andn2_b32 s14, s14, exec_lo
	s_and_b32 s45, s45, exec_lo
	s_or_b32 s14, s14, s45
.LBB4_515:                              ;   in Loop: Header=BB4_447 Depth=3
	s_or_b32 exec_lo, exec_lo, s15
	v_cmp_eq_u32_e32 vcc_lo, 0, v54
	s_xor_b32 s14, s14, -1
	v_mov_b32_e32 v54, 0
	v_cndmask_b32_e64 v55, 0, 1, s14
	v_mov_b32_e32 v64, v0
	v_cndmask_b32_e32 v70, 0, v66, vcc_lo
	v_mov_b32_e32 v83, v28
	s_mov_b32 s14, -1
	v_cmp_ne_u32_e32 vcc_lo, 0, v55
	v_mov_b32_e32 v55, v70
	s_cbranch_vccz .LBB4_518
; %bb.516:                              ;   in Loop: Header=BB4_447 Depth=3
	s_and_saveexec_b32 s15, s14
	s_cbranch_execnz .LBB4_531
	s_branch .LBB4_539
.LBB4_517:                              ;   in Loop: Header=BB4_447 Depth=3
	s_mov_b32 s14, 0
	s_and_saveexec_b32 s15, s5
	s_cbranch_execnz .LBB4_540
	s_branch .LBB4_558
.LBB4_518:                              ;   in Loop: Header=BB4_447 Depth=3
	v_ashrrev_i32_e32 v54, 31, v70
	s_mov_b32 s15, exec_lo
	v_lshrrev_b32_e32 v54, 21, v54
	v_add_nc_u32_e32 v54, v70, v54
	v_ashrrev_i32_e32 v80, 11, v54
	v_sub_nc_u32_e32 v71, v80, v28
	v_cmpx_lt_i32_e32 0, v71
	s_cbranch_execz .LBB4_522
; %bb.519:                              ;   in Loop: Header=BB4_447 Depth=3
	v_mov_b32_e32 v55, v53
	v_mov_b32_e32 v65, v9
	;; [unrolled: 1-line block ×4, first 2 shown]
	s_mov_b32 s45, 0
	s_inst_prefetch 0x1
	.p2align	6
.LBB4_520:                              ;   Parent Loop BB4_53 Depth=1
                                        ;     Parent Loop BB4_89 Depth=2
                                        ;       Parent Loop BB4_447 Depth=3
                                        ; =>      This Inner Loop Header: Depth=4
	v_add_co_u32 v45, vcc_lo, v100, v64
	v_add_co_ci_u32_e64 v46, null, v101, v65, vcc_lo
	v_sub_nc_u32_e32 v71, v71, v97
	s_clause 0x3
	global_load_dwordx4 v[81:84], v[45:46], off slc
	global_load_dwordx4 v[41:44], v[45:46], off offset:512 slc
	global_load_dwordx4 v[56:59], v[45:46], off offset:1024 slc
	global_load_dwordx4 v[60:63], v[45:46], off offset:1536 slc
	v_add_co_u32 v45, vcc_lo, v100, v54
	v_add_co_ci_u32_e64 v46, null, v101, v55, vcc_lo
	v_add_co_u32 v64, vcc_lo, v64, v98
	v_add_co_ci_u32_e64 v65, null, 0, v65, vcc_lo
	v_add_co_u32 v54, vcc_lo, v54, v98
	v_cmp_gt_i32_e64 s14, 1, v71
	v_add_co_ci_u32_e64 v55, null, 0, v55, vcc_lo
	s_waitcnt vmcnt(3)
	global_store_dwordx4 v[45:46], v[81:84], off glc slc
	s_waitcnt vmcnt(2)
	global_store_dwordx4 v[45:46], v[41:44], off offset:512 glc slc
	s_waitcnt vmcnt(1)
	global_store_dwordx4 v[45:46], v[56:59], off offset:1024 glc slc
	;; [unrolled: 2-line block ×3, first 2 shown]
	s_or_b32 s45, s14, s45
	s_andn2_b32 exec_lo, exec_lo, s45
	s_cbranch_execnz .LBB4_520
; %bb.521:                              ;   in Loop: Header=BB4_447 Depth=3
	s_inst_prefetch 0x2
	s_or_b32 exec_lo, exec_lo, s45
.LBB4_522:                              ;   in Loop: Header=BB4_447 Depth=3
	s_or_b32 exec_lo, exec_lo, s15
	v_lshlrev_b32_e32 v65, 11, v80
	v_mov_b32_e32 v54, 0
	s_mov_b32 s14, 0
	s_mov_b32 s45, exec_lo
                                        ; implicit-def: $vgpr55
                                        ; implicit-def: $vgpr64
                                        ; implicit-def: $vgpr83
	v_cmpx_ne_u32_e64 v70, v65
	s_cbranch_execz .LBB4_530
; %bb.523:                              ;   in Loop: Header=BB4_447 Depth=3
	v_lshlrev_b32_e32 v54, 5, v71
	v_sub_nc_u32_e32 v64, v70, v65
	s_mov_b32 s46, exec_lo
	v_sub_nc_u32_e32 v54, v99, v54
	v_ashrrev_i32_e32 v71, 31, v64
	v_ashrrev_i32_e32 v55, 31, v54
	v_lshrrev_b32_e32 v71, 23, v71
	v_lshrrev_b32_e32 v55, 27, v55
	v_add_nc_u32_e32 v82, v64, v71
	v_add_nc_u32_e32 v55, v54, v55
	v_and_b32_e32 v71, 0xfffffe00, v82
	v_ashrrev_i32_e32 v82, 9, v82
	v_and_b32_e32 v80, 0xffffffe0, v55
	v_sub_nc_u32_e32 v81, v64, v71
	v_ashrrev_i32_e32 v83, 5, v55
	v_sub_nc_u32_e32 v80, v54, v80
	v_cmp_lt_i32_e32 vcc_lo, 15, v81
	v_lshlrev_b32_e32 v54, 4, v80
	v_add_co_ci_u32_e64 v82, null, 0, v82, vcc_lo
	v_lshl_add_u32 v55, v83, 9, v54
	v_sub_nc_u32_e32 v82, v82, v83
	v_sub_nc_u32_e32 v54, v64, v55
	v_cmpx_lt_i32_e32 15, v54
	s_cbranch_execz .LBB4_527
; %bb.524:                              ;   in Loop: Header=BB4_447 Depth=3
	v_add_nc_u32_e32 v55, v55, v65
	s_mov_b32 s47, 0
	v_ashrrev_i32_e32 v64, 31, v55
	.p2align	6
.LBB4_525:                              ;   Parent Loop BB4_53 Depth=1
                                        ;     Parent Loop BB4_89 Depth=2
                                        ;       Parent Loop BB4_447 Depth=3
                                        ; =>      This Inner Loop Header: Depth=4
	v_add_co_u32 v83, s14, v8, v55
	v_add_co_ci_u32_e64 v84, null, v9, v64, s14
	v_sub_nc_u32_e32 v54, v54, v102
	v_sub_nc_u32_e32 v82, v82, v97
	global_load_dwordx4 v[41:44], v[83:84], off slc
	v_add_co_u32 v83, s14, v52, v55
	v_add_co_ci_u32_e64 v84, null, v53, v64, s14
	v_cmp_gt_i32_e64 s14, 16, v54
	v_add_co_u32 v55, s15, v55, v102
	v_add_co_ci_u32_e64 v64, null, 0, v64, s15
	s_or_b32 s47, s14, s47
	s_waitcnt vmcnt(0)
	global_store_dwordx4 v[83:84], v[41:44], off glc slc
	s_andn2_b32 exec_lo, exec_lo, s47
	s_cbranch_execnz .LBB4_525
; %bb.526:                              ;   in Loop: Header=BB4_447 Depth=3
	s_or_b32 exec_lo, exec_lo, s47
.LBB4_527:                              ;   in Loop: Header=BB4_447 Depth=3
	s_or_b32 exec_lo, exec_lo, s46
	v_and_b32_e32 v84, 15, v70
	v_mov_b32_e32 v54, 0
	s_mov_b32 s15, 0
	s_mov_b32 s46, exec_lo
                                        ; implicit-def: $vgpr64
                                        ; implicit-def: $vgpr83
	v_cndmask_b32_e32 v55, v81, v84, vcc_lo
	v_cmpx_ne_u32_e32 0, v55
	s_cbranch_execz .LBB4_529
; %bb.528:                              ;   in Loop: Header=BB4_447 Depth=3
	v_cmp_lt_i32_e64 s14, 0, v82
	s_mov_b32 s15, exec_lo
	v_cndmask_b32_e64 v54, 0, v97, s14
	v_sub_nc_u32_e32 v54, v54, v82
	v_lshl_add_u32 v64, v54, 5, v80
	v_sub_nc_u32_e32 v80, v81, v84
	v_ashrrev_i32_e32 v54, 31, v64
	v_cndmask_b32_e32 v80, 0, v80, vcc_lo
	v_lshrrev_b32_e32 v54, 27, v54
	v_add_nc_u32_e32 v81, v64, v54
	v_add3_u32 v54, v71, v65, v80
	v_ashrrev_i32_e32 v83, 5, v81
.LBB4_529:                              ;   in Loop: Header=BB4_447 Depth=3
	s_or_b32 exec_lo, exec_lo, s46
	s_and_b32 s14, s15, exec_lo
.LBB4_530:                              ;   in Loop: Header=BB4_447 Depth=3
	s_or_b32 exec_lo, exec_lo, s45
	s_and_saveexec_b32 s15, s14
	s_cbranch_execz .LBB4_539
.LBB4_531:                              ;   in Loop: Header=BB4_447 Depth=3
	v_ashrrev_i32_e32 v65, 31, v55
	v_ashrrev_i32_e32 v71, 31, v64
	s_mov_b32 s14, exec_lo
	v_lshrrev_b32_e32 v65, 23, v65
	v_lshrrev_b32_e32 v71, 27, v71
	v_add_nc_u32_e32 v65, v55, v65
	v_ashrrev_i32_e32 v80, 9, v65
	v_sub_nc_u32_e32 v65, v80, v83
	v_cmpx_lt_i32_e32 0, v65
	s_cbranch_execz .LBB4_535
; %bb.532:                              ;   in Loop: Header=BB4_447 Depth=3
	v_add_nc_u32_e32 v81, v64, v71
	v_lshlrev_b32_e32 v82, 9, v83
	s_mov_b32 s45, 0
	v_and_b32_e32 v81, 0xffffffe0, v81
	v_sub_nc_u32_e32 v81, v64, v81
	v_add3_u32 v81, v54, v81, v82
	v_ashrrev_i32_e32 v82, 31, v81
.LBB4_533:                              ;   Parent Loop BB4_53 Depth=1
                                        ;     Parent Loop BB4_89 Depth=2
                                        ;       Parent Loop BB4_447 Depth=3
                                        ; =>      This Inner Loop Header: Depth=4
	v_add_co_u32 v83, vcc_lo, v81, v8
	v_add_co_ci_u32_e64 v84, null, v82, v9, vcc_lo
	v_sub_nc_u32_e32 v65, v65, v97
	s_clause 0xf
	flat_load_ubyte v41, v[83:84] slc
	flat_load_ubyte v42, v[83:84] offset:32 slc
	flat_load_ubyte v43, v[83:84] offset:64 slc
	;; [unrolled: 1-line block ×15, first 2 shown]
	v_add_co_u32 v83, vcc_lo, v81, v52
	v_add_co_ci_u32_e64 v84, null, v82, v53, vcc_lo
	v_add_co_u32 v8, vcc_lo, v8, v102
	v_add_co_ci_u32_e64 v9, null, 0, v9, vcc_lo
	;; [unrolled: 2-line block ×3, first 2 shown]
	v_cmp_gt_i32_e32 vcc_lo, 1, v65
	s_waitcnt vmcnt(15) lgkmcnt(15)
	flat_store_byte v[83:84], v41 glc slc
	s_waitcnt vmcnt(14) lgkmcnt(15)
	flat_store_byte v[83:84], v42 offset:32 glc slc
	s_waitcnt vmcnt(13) lgkmcnt(15)
	flat_store_byte v[83:84], v43 offset:64 glc slc
	;; [unrolled: 2-line block ×15, first 2 shown]
	s_or_b32 s45, vcc_lo, s45
	s_andn2_b32 exec_lo, exec_lo, s45
	s_cbranch_execnz .LBB4_533
; %bb.534:                              ;   in Loop: Header=BB4_447 Depth=3
	s_or_b32 exec_lo, exec_lo, s45
.LBB4_535:                              ;   in Loop: Header=BB4_447 Depth=3
	s_or_b32 exec_lo, exec_lo, s14
	v_lshlrev_b32_e32 v8, 9, v80
	v_cmp_ne_u32_e32 vcc_lo, v55, v8
	s_and_b32 exec_lo, exec_lo, vcc_lo
	s_cbranch_execz .LBB4_539
; %bb.536:                              ;   in Loop: Header=BB4_447 Depth=3
	v_add_nc_u32_e32 v9, v64, v71
	v_lshlrev_b32_e32 v52, 5, v65
	v_and_b32_e32 v9, 0xffffffe0, v9
	v_sub_nc_u32_e32 v9, v64, v9
	v_sub_nc_u32_e32 v9, v9, v52
	v_add_nc_u32_e32 v53, v8, v9
	v_sub_nc_u32_e32 v52, v55, v53
	v_cmp_lt_i32_e32 vcc_lo, 0, v52
	s_and_b32 exec_lo, exec_lo, vcc_lo
	s_cbranch_execz .LBB4_539
; %bb.537:                              ;   in Loop: Header=BB4_447 Depth=3
	s_trap 2
	ds_read_b64 v[8:9], v0
	v_add_nc_u32_e32 v53, v53, v54
	s_mov_b32 s45, 0
	v_ashrrev_i32_e32 v54, 31, v53
	.p2align	6
.LBB4_538:                              ;   Parent Loop BB4_53 Depth=1
                                        ;     Parent Loop BB4_89 Depth=2
                                        ;       Parent Loop BB4_447 Depth=3
                                        ; =>      This Inner Loop Header: Depth=4
	s_waitcnt lgkmcnt(0)
	v_add_co_u32 v64, vcc_lo, v8, v53
	v_add_co_ci_u32_e64 v65, null, v9, v54, vcc_lo
	v_sub_nc_u32_e32 v52, v52, v103
	v_add_co_u32 v53, s14, v53, v103
	flat_load_ubyte v55, v[64:65] slc
	v_add_co_ci_u32_e64 v54, null, 0, v54, s14
	v_cmp_gt_i32_e32 vcc_lo, 1, v52
	s_or_b32 s45, vcc_lo, s45
	s_waitcnt vmcnt(0) lgkmcnt(0)
	flat_store_byte v[64:65], v55 glc slc
	s_andn2_b32 exec_lo, exec_lo, s45
	s_cbranch_execnz .LBB4_538
.LBB4_539:                              ;   in Loop: Header=BB4_447 Depth=3
	s_or_b32 exec_lo, exec_lo, s15
	v_cmp_lt_i32_e64 s14, 0, v70
	s_and_saveexec_b32 s15, s5
	s_cbranch_execz .LBB4_558
.LBB4_540:                              ;   in Loop: Header=BB4_447 Depth=3
	s_and_saveexec_b32 s45, s24
	s_xor_b32 s45, exec_lo, s45
	s_cbranch_execz .LBB4_555
; %bb.541:                              ;   in Loop: Header=BB4_447 Depth=3
	s_and_saveexec_b32 s46, s7
	s_cbranch_execz .LBB4_554
; %bb.542:                              ;   in Loop: Header=BB4_447 Depth=3
	s_mov_b32 s56, exec_lo
	s_mov_b32 s47, exec_lo
	v_mbcnt_lo_u32_b32 v8, s56, 0
	s_waitcnt vmcnt(0) lgkmcnt(0)
	s_waitcnt_vscnt null, 0x0
	buffer_gl1_inv
	buffer_gl0_inv
	v_cmpx_eq_u32_e32 0, v8
	s_cbranch_execz .LBB4_544
; %bb.543:                              ;   in Loop: Header=BB4_447 Depth=3
	s_bcnt1_i32_b32 s56, s56
	v_mov_b32_e32 v9, v26
	v_mov_b32_e32 v8, s56
	ds_add_u64 v0, v[8:9]
	s_trap 2
.LBB4_544:                              ;   in Loop: Header=BB4_447 Depth=3
	s_or_b32 exec_lo, exec_lo, s47
	s_trap 2
	ds_read_b64 v[8:9], v0
	s_waitcnt lgkmcnt(0)
	buffer_gl0_inv
	v_add_co_u32 v10, vcc_lo, v10, v97
	v_add_co_ci_u32_e64 v11, null, 0, v11, vcc_lo
	s_mov_b32 s47, exec_lo
	v_cmpx_lt_u64_e64 v[8:9], v[10:11]
	s_cbranch_execz .LBB4_553
; %bb.545:                              ;   in Loop: Header=BB4_447 Depth=3
	s_mov_b32 s56, 0
	s_mov_b32 s59, 0
                                        ; implicit-def: $sgpr57
                                        ; implicit-def: $sgpr58
	s_inst_prefetch 0x1
	s_branch .LBB4_547
	.p2align	6
.LBB4_546:                              ;   in Loop: Header=BB4_547 Depth=4
	s_or_b32 exec_lo, exec_lo, s61
	s_and_b32 s60, exec_lo, s62
	s_or_b32 s56, s60, s56
	s_andn2_b32 s57, s57, exec_lo
	s_and_b32 s60, s58, exec_lo
	s_or_b32 s57, s57, s60
	s_andn2_b32 exec_lo, exec_lo, s56
	s_cbranch_execz .LBB4_551
.LBB4_547:                              ;   Parent Loop BB4_53 Depth=1
                                        ;     Parent Loop BB4_89 Depth=2
                                        ;       Parent Loop BB4_447 Depth=3
                                        ; =>      This Inner Loop Header: Depth=4
	s_add_i32 s59, s59, 1
	s_cmpk_lg_i32 s59, 0x2710
	s_cselect_b32 s60, -1, 0
	s_and_b32 vcc_lo, exec_lo, s60
	s_cbranch_vccz .LBB4_549
; %bb.548:                              ;   in Loop: Header=BB4_547 Depth=4
	s_mov_b32 s62, -1
	s_or_b32 s58, s58, exec_lo
	s_and_saveexec_b32 s61, s60
	s_cbranch_execz .LBB4_546
	s_branch .LBB4_550
	.p2align	6
.LBB4_549:                              ;   in Loop: Header=BB4_547 Depth=4
	s_trap 2
	ds_read_b64 v[8:9], v0
	s_andn2_b32 s60, s60, exec_lo
	s_mov_b32 s59, 0
	s_waitcnt lgkmcnt(0)
	flat_load_dword v8, v[8:9] glc dlc
	s_waitcnt vmcnt(0) lgkmcnt(0)
	buffer_gl1_inv
	buffer_gl0_inv
	v_cmp_eq_u32_e32 vcc_lo, 0, v8
	s_and_b32 s61, vcc_lo, exec_lo
	s_or_b32 s60, s60, s61
	s_mov_b32 s62, -1
	s_or_b32 s58, s58, exec_lo
	s_and_saveexec_b32 s61, s60
	s_cbranch_execz .LBB4_546
.LBB4_550:                              ;   in Loop: Header=BB4_547 Depth=4
	s_sleep 1
	s_trap 2
	ds_read_b64 v[8:9], v0
	s_waitcnt lgkmcnt(0)
	buffer_gl0_inv
	s_andn2_b32 s58, s58, exec_lo
	v_cmp_ge_u64_e32 vcc_lo, v[8:9], v[10:11]
	s_orn2_b32 s62, vcc_lo, exec_lo
	s_branch .LBB4_546
.LBB4_551:                              ;   in Loop: Header=BB4_447 Depth=3
	s_inst_prefetch 0x2
	s_or_b32 exec_lo, exec_lo, s56
	s_and_saveexec_b32 s56, s57
	s_xor_b32 s56, exec_lo, s56
	s_cbranch_execz .LBB4_553
; %bb.552:                              ;   in Loop: Header=BB4_447 Depth=3
	ds_write_b32 v0, v115
	s_trap 2
.LBB4_553:                              ;   in Loop: Header=BB4_447 Depth=3
	s_or_b32 exec_lo, exec_lo, s47
	;;#ASMSTART
	s_wakeup
	;;#ASMEND
.LBB4_554:                              ;   in Loop: Header=BB4_447 Depth=3
	s_or_b32 exec_lo, exec_lo, s46
.LBB4_555:                              ;   in Loop: Header=BB4_447 Depth=3
	s_andn2_saveexec_b32 s45, s45
	s_cbranch_execz .LBB4_557
; %bb.556:                              ;   in Loop: Header=BB4_447 Depth=3
	s_waitcnt vmcnt(0) lgkmcnt(0)
	s_waitcnt_vscnt null, 0x0
	buffer_gl1_inv
	buffer_gl0_inv
	s_barrier
.LBB4_557:                              ;   in Loop: Header=BB4_447 Depth=3
	s_or_b32 exec_lo, exec_lo, s45
.LBB4_558:                              ;   in Loop: Header=BB4_447 Depth=3
	s_or_b32 exec_lo, exec_lo, s15
	v_and_b32_e32 v8, 16, v87
	v_cmp_ne_u32_e32 vcc_lo, 0, v8
	s_and_b32 s15, vcc_lo, s14
	s_and_saveexec_b32 s14, s15
	s_cbranch_execz .LBB4_560
; %bb.559:                              ;   in Loop: Header=BB4_447 Depth=3
	s_waitcnt vmcnt(0) lgkmcnt(0)
	s_waitcnt_vscnt null, 0x0
	buffer_gl1_inv
	buffer_gl0_inv
.LBB4_560:                              ;   in Loop: Header=BB4_447 Depth=3
	s_or_b32 exec_lo, exec_lo, s14
	v_and_b32_e32 v8, 32, v87
	s_mov_b32 s14, exec_lo
	v_cmpx_ne_u32_e32 0, v8
	s_cbranch_execz .LBB4_446
; %bb.561:                              ;   in Loop: Header=BB4_447 Depth=3
	v_add_co_u32 v48, vcc_lo, v48, 2
	v_add_co_ci_u32_e64 v49, null, 0, v49, vcc_lo
	s_waitcnt vmcnt(0) lgkmcnt(0)
	s_waitcnt_vscnt null, 0x0
	flat_store_dwordx2 v[16:17], v[48:49]
	s_branch .LBB4_446
.LBB4_562:                              ;   in Loop: Header=BB4_89 Depth=2
	s_or_b32 exec_lo, exec_lo, s42
.LBB4_563:                              ;   in Loop: Header=BB4_89 Depth=2
	s_or_b32 exec_lo, exec_lo, s41
	s_mov_b32 s15, exec_lo
	v_cmpx_gt_i32_e32 2, v8
	s_cbranch_execz .LBB4_88
; %bb.564:                              ;   in Loop: Header=BB4_89 Depth=2
	v_cmp_eq_u32_e64 s42, 0, v8
	s_mov_b32 s41, 0
	s_branch .LBB4_566
.LBB4_565:                              ;   in Loop: Header=BB4_566 Depth=3
	s_or_b32 exec_lo, exec_lo, s14
	v_add_nc_u32_e32 v67, v66, v67
	s_mov_b32 s42, 0
	s_andn2_b32 exec_lo, exec_lo, s41
	s_cbranch_execz .LBB4_87
.LBB4_566:                              ;   Parent Loop BB4_53 Depth=1
                                        ;     Parent Loop BB4_89 Depth=2
                                        ; =>    This Loop Header: Depth=3
                                        ;         Child Loop BB4_572 Depth 4
                                        ;         Child Loop BB4_596 Depth 4
	v_and_b32_e32 v8, 4, v87
	s_mov_b32 s43, exec_lo
	v_cmpx_ne_u32_e32 0, v8
	s_cbranch_execz .LBB4_588
; %bb.567:                              ;   in Loop: Header=BB4_566 Depth=3
	v_add_co_u32 v8, vcc_lo, v48, 2
	v_add_co_ci_u32_e64 v9, null, 0, v49, vcc_lo
	s_mov_b32 s44, exec_lo
	s_waitcnt vmcnt(0)
	v_cmpx_lt_u64_e64 v[22:23], v[8:9]
	s_cbranch_execz .LBB4_579
; %bb.568:                              ;   in Loop: Header=BB4_566 Depth=3
	v_and_b32_e32 v22, 64, v87
	s_mov_b32 s45, 0
	s_mov_b32 s57, 0
                                        ; implicit-def: $sgpr46
                                        ; implicit-def: $sgpr47
                                        ; implicit-def: $sgpr56
	v_cmp_eq_u32_e32 vcc_lo, 0, v22
	s_branch .LBB4_572
.LBB4_569:                              ;   in Loop: Header=BB4_572 Depth=4
	s_waitcnt vmcnt(0) lgkmcnt(0)
	v_cmp_ge_u64_e64 s14, v[22:23], v[8:9]
	s_or_b32 s60, s60, exec_lo
	s_orn2_b32 s59, s14, exec_lo
.LBB4_570:                              ;   in Loop: Header=BB4_572 Depth=4
	s_or_b32 exec_lo, exec_lo, s62
	s_andn2_b32 s14, s56, exec_lo
	s_and_b32 s56, s60, exec_lo
	s_andn2_b32 s47, s47, exec_lo
	s_and_b32 s59, s59, exec_lo
	s_or_b32 s56, s14, s56
	s_or_b32 s47, s47, s59
.LBB4_571:                              ;   in Loop: Header=BB4_572 Depth=4
	s_or_b32 exec_lo, exec_lo, s58
	s_and_b32 s14, exec_lo, s47
	s_or_b32 s45, s14, s45
	s_andn2_b32 s14, s46, exec_lo
	s_and_b32 s46, s56, exec_lo
	s_or_b32 s46, s14, s46
	s_andn2_b32 exec_lo, exec_lo, s45
	s_cbranch_execz .LBB4_576
.LBB4_572:                              ;   Parent Loop BB4_53 Depth=1
                                        ;     Parent Loop BB4_89 Depth=2
                                        ;       Parent Loop BB4_566 Depth=3
                                        ; =>      This Inner Loop Header: Depth=4
	s_sleep 1
	s_waitcnt vmcnt(0) lgkmcnt(0)
	flat_load_dwordx2 v[22:23], v[16:17] glc dlc
	s_or_b32 s56, s56, exec_lo
	s_or_b32 s47, s47, exec_lo
                                        ; implicit-def: $vgpr49
	s_and_saveexec_b32 s58, vcc_lo
	s_cbranch_execz .LBB4_571
; %bb.573:                              ;   in Loop: Header=BB4_572 Depth=4
	s_cmpk_lt_i32 s57, 0x270f
	s_mov_b32 s59, -1
	s_cselect_b32 s61, -1, 0
	s_cmpk_gt_i32 s57, 0x270e
	s_cbranch_scc0 .LBB4_575
; %bb.574:                              ;   in Loop: Header=BB4_572 Depth=4
	s_trap 2
	ds_read_b64 v[52:53], v0
	s_andn2_b32 s57, s61, exec_lo
	s_mov_b32 s60, 0
	s_waitcnt vmcnt(0) lgkmcnt(0)
	s_waitcnt_vscnt null, 0x0
	flat_load_dword v49, v[52:53] glc dlc
	s_waitcnt vmcnt(0) lgkmcnt(0)
	buffer_gl1_inv
	buffer_gl0_inv
	v_cmp_eq_u32_e64 s14, 0, v49
	s_and_b32 s14, s14, exec_lo
	s_or_b32 s61, s57, s14
	s_mov_b32 s57, 0
	s_and_saveexec_b32 s62, s61
	s_cbranch_execz .LBB4_570
	s_branch .LBB4_569
.LBB4_575:                              ;   in Loop: Header=BB4_572 Depth=4
	s_add_i32 s57, s57, 1
	s_mov_b32 s60, -1
                                        ; implicit-def: $vgpr49
	s_and_saveexec_b32 s62, s61
	s_cbranch_execz .LBB4_570
	s_branch .LBB4_569
.LBB4_576:                              ;   in Loop: Header=BB4_566 Depth=3
	s_or_b32 exec_lo, exec_lo, s45
	s_xor_b32 s14, s46, -1
	s_and_saveexec_b32 s45, s14
	s_xor_b32 s14, exec_lo, s45
	s_cbranch_execz .LBB4_578
; %bb.577:                              ;   in Loop: Header=BB4_566 Depth=3
	v_or_b32_e32 v87, 64, v87
	s_waitcnt vmcnt(0) lgkmcnt(0)
	s_waitcnt_vscnt null, 0x0
	ds_write_b32 v0, v49
	s_trap 2
.LBB4_578:                              ;   in Loop: Header=BB4_566 Depth=3
	s_or_b32 exec_lo, exec_lo, s14
.LBB4_579:                              ;   in Loop: Header=BB4_566 Depth=3
	s_or_b32 exec_lo, exec_lo, s44
	v_and_b32_e32 v49, 0x100, v87
	v_and_b32_e32 v54, 7, v48
	s_mov_b32 s14, -1
	;;#ASMSTART
	s_wakeup
	;;#ASMEND
	v_cmp_ne_u32_e32 vcc_lo, 0, v49
                                        ; implicit-def: $vgpr48_vgpr49
	s_and_saveexec_b32 s44, vcc_lo
	s_cbranch_execz .LBB4_583
; %bb.580:                              ;   in Loop: Header=BB4_566 Depth=3
	v_mad_u64_u32 v[52:53], null, v54, 24, v[4:5]
	flat_load_dword v48, v[52:53]
	s_waitcnt vmcnt(0) lgkmcnt(0)
	v_cmp_eq_u32_e64 s14, 1, v48
	v_cmp_ne_u32_e32 vcc_lo, 1, v48
                                        ; implicit-def: $vgpr48_vgpr49
	s_and_saveexec_b32 s45, s14
	s_cbranch_execz .LBB4_582
; %bb.581:                              ;   in Loop: Header=BB4_566 Depth=3
	flat_load_dword v48, v[52:53] offset:4 glc dlc
	s_waitcnt vmcnt(0) lgkmcnt(0)
	v_ashrrev_i32_e32 v49, 31, v48
.LBB4_582:                              ;   in Loop: Header=BB4_566 Depth=3
	s_or_b32 exec_lo, exec_lo, s45
	s_orn2_b32 s14, vcc_lo, exec_lo
.LBB4_583:                              ;   in Loop: Header=BB4_566 Depth=3
	s_or_b32 exec_lo, exec_lo, s44
	s_and_saveexec_b32 s44, s14
; %bb.584:                              ;   in Loop: Header=BB4_566 Depth=3
	v_mad_i64_i32 v[48:49], null, v54, v96, 0
; %bb.585:                              ;   in Loop: Header=BB4_566 Depth=3
	s_or_b32 exec_lo, exec_lo, s44
	v_add_co_u32 v48, vcc_lo, v18, v48
	v_and_b32_e32 v52, 0x2000, v87
	v_add_co_ci_u32_e64 v49, null, v19, v49, vcc_lo
	s_mov_b32 s14, exec_lo
	ds_write_b64 v0, v[48:49] offset:720
	v_cmpx_ne_u32_e32 0, v52
	s_cbranch_execz .LBB4_587
; %bb.586:                              ;   in Loop: Header=BB4_566 Depth=3
	ds_read_b64 v[48:49], v0 offset:872
	s_waitcnt lgkmcnt(0)
	v_add_co_u32 v48, vcc_lo, v48, 1
	v_add_co_ci_u32_e64 v49, null, 0, v49, vcc_lo
	ds_write_b64 v0, v[48:49] offset:872
.LBB4_587:                              ;   in Loop: Header=BB4_566 Depth=3
	s_or_b32 exec_lo, exec_lo, s14
	v_mov_b32_e32 v49, v9
	v_mov_b32_e32 v48, v8
.LBB4_588:                              ;   in Loop: Header=BB4_566 Depth=3
	s_or_b32 exec_lo, exec_lo, s43
	s_xor_b32 s14, s42, -1
	s_and_b32 s14, exec_lo, s14
	s_or_b32 s41, s14, s41
	s_and_saveexec_b32 s14, s5
	s_cbranch_execz .LBB4_607
; %bb.589:                              ;   in Loop: Header=BB4_566 Depth=3
	s_and_saveexec_b32 s42, s24
	s_xor_b32 s42, exec_lo, s42
	s_cbranch_execz .LBB4_604
; %bb.590:                              ;   in Loop: Header=BB4_566 Depth=3
	s_and_saveexec_b32 s43, s7
	s_cbranch_execz .LBB4_603
; %bb.591:                              ;   in Loop: Header=BB4_566 Depth=3
	s_mov_b32 s45, exec_lo
	s_mov_b32 s44, exec_lo
	v_mbcnt_lo_u32_b32 v8, s45, 0
	s_waitcnt vmcnt(0) lgkmcnt(0)
	s_waitcnt_vscnt null, 0x0
	buffer_gl1_inv
	buffer_gl0_inv
	v_cmpx_eq_u32_e32 0, v8
	s_cbranch_execz .LBB4_593
; %bb.592:                              ;   in Loop: Header=BB4_566 Depth=3
	s_bcnt1_i32_b32 s45, s45
	v_mov_b32_e32 v9, v26
	v_mov_b32_e32 v8, s45
	ds_add_u64 v0, v[8:9]
	s_trap 2
.LBB4_593:                              ;   in Loop: Header=BB4_566 Depth=3
	s_or_b32 exec_lo, exec_lo, s44
	s_trap 2
	ds_read_b64 v[8:9], v0
	s_waitcnt lgkmcnt(0)
	buffer_gl0_inv
	v_add_co_u32 v10, vcc_lo, v10, v97
	v_add_co_ci_u32_e64 v11, null, 0, v11, vcc_lo
	s_mov_b32 s44, exec_lo
	v_cmpx_lt_u64_e64 v[8:9], v[10:11]
	s_cbranch_execz .LBB4_602
; %bb.594:                              ;   in Loop: Header=BB4_566 Depth=3
	s_mov_b32 s45, 0
	s_mov_b32 s56, 0
                                        ; implicit-def: $sgpr46
                                        ; implicit-def: $sgpr47
	s_inst_prefetch 0x1
	s_branch .LBB4_596
	.p2align	6
.LBB4_595:                              ;   in Loop: Header=BB4_596 Depth=4
	s_or_b32 exec_lo, exec_lo, s58
	s_and_b32 s57, exec_lo, s59
	s_or_b32 s45, s57, s45
	s_andn2_b32 s46, s46, exec_lo
	s_and_b32 s57, s47, exec_lo
	s_or_b32 s46, s46, s57
	s_andn2_b32 exec_lo, exec_lo, s45
	s_cbranch_execz .LBB4_600
.LBB4_596:                              ;   Parent Loop BB4_53 Depth=1
                                        ;     Parent Loop BB4_89 Depth=2
                                        ;       Parent Loop BB4_566 Depth=3
                                        ; =>      This Inner Loop Header: Depth=4
	s_add_i32 s56, s56, 1
	s_cmpk_lg_i32 s56, 0x2710
	s_cselect_b32 s57, -1, 0
	s_and_b32 vcc_lo, exec_lo, s57
	s_cbranch_vccz .LBB4_598
; %bb.597:                              ;   in Loop: Header=BB4_596 Depth=4
	s_mov_b32 s59, -1
	s_or_b32 s47, s47, exec_lo
	s_and_saveexec_b32 s58, s57
	s_cbranch_execz .LBB4_595
	s_branch .LBB4_599
	.p2align	6
.LBB4_598:                              ;   in Loop: Header=BB4_596 Depth=4
	s_trap 2
	ds_read_b64 v[8:9], v0
	s_andn2_b32 s57, s57, exec_lo
	s_mov_b32 s56, 0
	s_waitcnt lgkmcnt(0)
	flat_load_dword v8, v[8:9] glc dlc
	s_waitcnt vmcnt(0) lgkmcnt(0)
	buffer_gl1_inv
	buffer_gl0_inv
	v_cmp_eq_u32_e32 vcc_lo, 0, v8
	s_and_b32 s58, vcc_lo, exec_lo
	s_or_b32 s57, s57, s58
	s_mov_b32 s59, -1
	s_or_b32 s47, s47, exec_lo
	s_and_saveexec_b32 s58, s57
	s_cbranch_execz .LBB4_595
.LBB4_599:                              ;   in Loop: Header=BB4_596 Depth=4
	s_sleep 1
	s_trap 2
	ds_read_b64 v[8:9], v0
	s_waitcnt lgkmcnt(0)
	buffer_gl0_inv
	s_andn2_b32 s47, s47, exec_lo
	v_cmp_ge_u64_e32 vcc_lo, v[8:9], v[10:11]
	s_orn2_b32 s59, vcc_lo, exec_lo
	s_branch .LBB4_595
.LBB4_600:                              ;   in Loop: Header=BB4_566 Depth=3
	s_inst_prefetch 0x2
	s_or_b32 exec_lo, exec_lo, s45
	s_and_saveexec_b32 s45, s46
	s_xor_b32 s45, exec_lo, s45
	s_cbranch_execz .LBB4_602
; %bb.601:                              ;   in Loop: Header=BB4_566 Depth=3
	ds_write_b32 v0, v115
	s_trap 2
.LBB4_602:                              ;   in Loop: Header=BB4_566 Depth=3
	s_or_b32 exec_lo, exec_lo, s44
	;;#ASMSTART
	s_wakeup
	;;#ASMEND
.LBB4_603:                              ;   in Loop: Header=BB4_566 Depth=3
	s_or_b32 exec_lo, exec_lo, s43
.LBB4_604:                              ;   in Loop: Header=BB4_566 Depth=3
	s_andn2_saveexec_b32 s42, s42
	s_cbranch_execz .LBB4_606
; %bb.605:                              ;   in Loop: Header=BB4_566 Depth=3
	s_waitcnt vmcnt(0) lgkmcnt(0)
	s_waitcnt_vscnt null, 0x0
	buffer_gl1_inv
	buffer_gl0_inv
	s_barrier
.LBB4_606:                              ;   in Loop: Header=BB4_566 Depth=3
	s_or_b32 exec_lo, exec_lo, s42
.LBB4_607:                              ;   in Loop: Header=BB4_566 Depth=3
	s_or_b32 exec_lo, exec_lo, s14
	s_trap 2
	ds_read_b32 v8, v0
	v_sub_nc_u32_e32 v9, v27, v67
	v_min_i32_e32 v66, v66, v9
	v_cmp_lt_i32_e32 vcc_lo, 0, v66
	s_waitcnt lgkmcnt(0)
	v_readfirstlane_b32 s14, v8
	v_and_b32_e32 v8, 16, v87
	s_cmp_eq_u32 s14, 0
	v_cmp_ne_u32_e64 s14, 0, v8
	s_cselect_b32 s42, -1, 0
	s_and_b32 s42, vcc_lo, s42
	s_and_b32 s42, s14, s42
	s_and_saveexec_b32 s14, s42
	s_cbranch_execz .LBB4_609
; %bb.608:                              ;   in Loop: Header=BB4_566 Depth=3
	s_waitcnt vmcnt(0)
	s_waitcnt_vscnt null, 0x0
	buffer_gl1_inv
	buffer_gl0_inv
.LBB4_609:                              ;   in Loop: Header=BB4_566 Depth=3
	s_or_b32 exec_lo, exec_lo, s14
	v_and_b32_e32 v8, 32, v87
	s_mov_b32 s14, exec_lo
	v_cmpx_ne_u32_e32 0, v8
	s_cbranch_execz .LBB4_565
; %bb.610:                              ;   in Loop: Header=BB4_566 Depth=3
	v_add_co_u32 v48, vcc_lo, v48, 2
	v_add_co_ci_u32_e64 v49, null, 0, v49, vcc_lo
	s_waitcnt vmcnt(0)
	s_waitcnt_vscnt null, 0x0
	flat_store_dwordx2 v[16:17], v[48:49]
	s_branch .LBB4_565
.LBB4_611:                              ;   in Loop: Header=BB4_53 Depth=1
	s_or_b32 exec_lo, exec_lo, s29
.LBB4_612:                              ;   in Loop: Header=BB4_53 Depth=1
	s_or_b32 exec_lo, exec_lo, s28
.LBB4_613:                              ;   in Loop: Header=BB4_53 Depth=1
	s_or_b32 exec_lo, exec_lo, s27
	s_add_i32 s14, s16, 1
	s_add_i32 s20, s20, 1
	s_cmp_eq_u32 s16, s22
	s_cbranch_scc1 .LBB4_615
; %bb.614:                              ;   in Loop: Header=BB4_53 Depth=1
	s_mov_b32 s16, s14
	s_branch .LBB4_53
.LBB4_615:
	v_and_b32_e32 v0, 0x800, v87
	s_mov_b32 s5, exec_lo
	v_cmpx_eq_u32_e32 0, v0
	s_cbranch_execz .LBB4_648
; %bb.616:
	v_and_b32_e32 v0, 48, v87
	s_mov_b32 s4, exec_lo
	v_cmpx_ne_u32_e32 0, v0
	s_cbranch_execz .LBB4_618
; %bb.617:
	flat_store_dwordx2 v[14:15], v[48:49] offset:104
.LBB4_618:
	s_or_b32 exec_lo, exec_lo, s4
	v_and_b32_e32 v0, 0x88, v87
	s_mov_b32 s6, exec_lo
	v_cmpx_eq_u32_e32 0x88, v0
	s_cbranch_execz .LBB4_628
; %bb.619:
	v_add_nc_u32_e32 v0, 6, v48
	s_mov_b32 s7, 0
	v_and_b32_e32 v0, 7, v0
	v_mad_u64_u32 v[2:3], null, v0, 24, v[4:5]
	v_and_b32_e32 v0, 64, v87
	v_cmp_eq_u32_e64 s4, 0, v0
	flat_load_dwordx2 v[4:5], v[2:3] offset:8 glc dlc
	s_waitcnt vmcnt(0) lgkmcnt(0)
	v_cmp_ne_u64_e32 vcc_lo, -1, v[4:5]
	s_and_b32 s4, vcc_lo, s4
	s_and_b32 exec_lo, exec_lo, s4
	s_cbranch_execz .LBB4_628
; %bb.620:
	s_mov_b32 s11, 0
                                        ; implicit-def: $sgpr4
                                        ; implicit-def: $sgpr10
	s_inst_prefetch 0x1
	s_branch .LBB4_623
	.p2align	6
.LBB4_621:                              ;   in Loop: Header=BB4_623 Depth=1
	flat_load_dwordx2 v[4:5], v[2:3] offset:8 glc dlc
	s_waitcnt vmcnt(0)
	s_andn2_b32 s10, s10, exec_lo
	s_waitcnt lgkmcnt(0)
	v_cmp_eq_u64_e32 vcc_lo, -1, v[4:5]
	s_orn2_b32 s13, vcc_lo, exec_lo
.LBB4_622:                              ;   in Loop: Header=BB4_623 Depth=1
	s_or_b32 exec_lo, exec_lo, s14
	s_and_b32 s12, exec_lo, s13
	s_or_b32 s7, s12, s7
	s_andn2_b32 s4, s4, exec_lo
	s_and_b32 s12, s10, exec_lo
	s_or_b32 s4, s4, s12
	s_andn2_b32 exec_lo, exec_lo, s7
	s_cbranch_execz .LBB4_626
.LBB4_623:                              ; =>This Inner Loop Header: Depth=1
	s_cmpk_lt_i32 s11, 0x270f
	s_cselect_b32 s12, -1, 0
	s_and_b32 vcc_lo, exec_lo, s12
	s_cbranch_vccnz .LBB4_625
; %bb.624:                              ;   in Loop: Header=BB4_623 Depth=1
	s_trap 2
	ds_read_b64 v[4:5], v0
	s_andn2_b32 s12, s12, exec_lo
	s_mov_b32 s11, 0
	s_waitcnt lgkmcnt(0)
	s_waitcnt_vscnt null, 0x0
	flat_load_dword v0, v[4:5] glc dlc
	s_waitcnt vmcnt(0) lgkmcnt(0)
	buffer_gl1_inv
	buffer_gl0_inv
	v_cmp_eq_u32_e32 vcc_lo, 0, v0
	s_and_b32 s13, vcc_lo, exec_lo
	s_or_b32 s12, s12, s13
	s_mov_b32 s13, -1
	s_or_b32 s10, s10, exec_lo
	s_and_saveexec_b32 s14, s12
	s_cbranch_execz .LBB4_622
	s_branch .LBB4_621
	.p2align	6
.LBB4_625:                              ;   in Loop: Header=BB4_623 Depth=1
	s_add_i32 s11, s11, 1
                                        ; implicit-def: $vgpr0
	s_mov_b32 s13, -1
	s_or_b32 s10, s10, exec_lo
	s_and_saveexec_b32 s14, s12
	s_cbranch_execz .LBB4_622
	s_branch .LBB4_621
.LBB4_626:
	s_inst_prefetch 0x2
	s_or_b32 exec_lo, exec_lo, s7
	s_and_saveexec_b32 s7, s4
	s_xor_b32 s7, exec_lo, s7
	s_cbranch_execz .LBB4_628
; %bb.627:
	s_waitcnt_vscnt null, 0x0
	ds_write_b32 v0, v0
	s_trap 2
.LBB4_628:
	s_or_b32 exec_lo, exec_lo, s6
	v_and_b32_e32 v0, 0x2000, v87
	s_mov_b32 s4, exec_lo
	v_cmpx_ne_u32_e32 0, v0
	s_cbranch_execz .LBB4_630
; %bb.629:
	s_trap 2
	ds_read_b64 v[2:3], v0
	s_waitcnt lgkmcnt(0)
	flat_store_dwordx2 v[12:13], v[2:3] offset:16
.LBB4_630:
	s_or_b32 exec_lo, exec_lo, s4
	v_cmp_ne_u32_e32 vcc_lo, 32, v1
	s_and_b32 exec_lo, exec_lo, vcc_lo
	s_cbranch_execz .LBB4_648
; %bb.631:
	s_waitcnt vmcnt(0)
	v_cmp_ne_u32_sdwa s4, v1, v86 src0_sel:DWORD src1_sel:WORD_0
	s_and_saveexec_b32 s6, s4
	s_xor_b32 s4, exec_lo, s6
	s_cbranch_execz .LBB4_646
; %bb.632:
	v_and_b32_e32 v0, 31, v31
	s_mov_b32 s6, exec_lo
	v_cmpx_eq_u32_e32 0, v0
	s_cbranch_execz .LBB4_645
; %bb.633:
	s_mov_b32 s10, exec_lo
	s_mov_b32 s7, exec_lo
	v_mbcnt_lo_u32_b32 v0, s10, 0
	s_waitcnt lgkmcnt(0)
	s_waitcnt_vscnt null, 0x0
	buffer_gl1_inv
	buffer_gl0_inv
	v_cmpx_eq_u32_e32 0, v0
	s_cbranch_execz .LBB4_635
; %bb.634:
	s_bcnt1_i32_b32 s10, s10
	v_mov_b32_e32 v3, 0
	v_mov_b32_e32 v2, s10
	ds_add_u64 v0, v[2:3]
	s_trap 2
.LBB4_635:
	s_or_b32 exec_lo, exec_lo, s7
	s_trap 2
	ds_read_b64 v[2:3], v0
	s_waitcnt lgkmcnt(0)
	buffer_gl0_inv
	v_lshrrev_b32_e32 v0, 5, v1
	s_mov_b32 s7, exec_lo
	v_add_co_u32 v0, vcc_lo, v10, v0
	v_add_co_ci_u32_e64 v1, null, 0, v11, vcc_lo
	v_cmpx_lt_u64_e64 v[2:3], v[0:1]
	s_cbranch_execz .LBB4_644
; %bb.636:
	s_mov_b32 s10, 0
	s_mov_b32 s13, 0
                                        ; implicit-def: $sgpr11
                                        ; implicit-def: $sgpr12
	s_inst_prefetch 0x1
	s_branch .LBB4_638
	.p2align	6
.LBB4_637:                              ;   in Loop: Header=BB4_638 Depth=1
	s_or_b32 exec_lo, exec_lo, s15
	s_and_b32 s14, exec_lo, s16
	s_or_b32 s10, s14, s10
	s_andn2_b32 s11, s11, exec_lo
	s_and_b32 s14, s12, exec_lo
	s_or_b32 s11, s11, s14
	s_andn2_b32 exec_lo, exec_lo, s10
	s_cbranch_execz .LBB4_642
.LBB4_638:                              ; =>This Inner Loop Header: Depth=1
	s_add_i32 s13, s13, 1
	s_cmpk_lg_i32 s13, 0x2710
	s_cselect_b32 s14, -1, 0
	s_and_b32 vcc_lo, exec_lo, s14
	s_cbranch_vccz .LBB4_640
; %bb.639:                              ;   in Loop: Header=BB4_638 Depth=1
	s_mov_b32 s16, -1
	s_or_b32 s12, s12, exec_lo
	s_and_saveexec_b32 s15, s14
	s_cbranch_execz .LBB4_637
	s_branch .LBB4_641
.LBB4_640:                              ;   in Loop: Header=BB4_638 Depth=1
	s_trap 2
	ds_read_b64 v[2:3], v0
	s_andn2_b32 s14, s14, exec_lo
	s_mov_b32 s13, 0
	s_waitcnt lgkmcnt(0)
	flat_load_dword v2, v[2:3] glc dlc
	s_waitcnt vmcnt(0) lgkmcnt(0)
	buffer_gl1_inv
	buffer_gl0_inv
	v_cmp_eq_u32_e32 vcc_lo, 0, v2
	s_and_b32 s15, vcc_lo, exec_lo
	s_or_b32 s14, s14, s15
	s_mov_b32 s16, -1
	s_or_b32 s12, s12, exec_lo
	s_and_saveexec_b32 s15, s14
	s_cbranch_execz .LBB4_637
.LBB4_641:                              ;   in Loop: Header=BB4_638 Depth=1
	s_sleep 1
	s_trap 2
	ds_read_b64 v[2:3], v0
	s_waitcnt lgkmcnt(0)
	buffer_gl0_inv
	s_andn2_b32 s12, s12, exec_lo
	v_cmp_ge_u64_e32 vcc_lo, v[2:3], v[0:1]
	s_orn2_b32 s16, vcc_lo, exec_lo
	s_branch .LBB4_637
.LBB4_642:
	s_inst_prefetch 0x2
	s_or_b32 exec_lo, exec_lo, s10
	s_and_saveexec_b32 s10, s11
	s_xor_b32 s10, exec_lo, s10
	s_cbranch_execz .LBB4_644
; %bb.643:
	v_mov_b32_e32 v0, 1
	ds_write_b32 v0, v0
	s_trap 2
.LBB4_644:
	s_or_b32 exec_lo, exec_lo, s7
	;;#ASMSTART
	s_wakeup
	;;#ASMEND
.LBB4_645:
	s_or_b32 exec_lo, exec_lo, s6
.LBB4_646:
	s_andn2_saveexec_b32 s4, s4
	s_cbranch_execz .LBB4_648
; %bb.647:
	s_waitcnt lgkmcnt(0)
	s_waitcnt_vscnt null, 0x0
	buffer_gl1_inv
	buffer_gl0_inv
	s_barrier
.LBB4_648:
	s_or_b32 exec_lo, exec_lo, s5
.LBB4_649:
	s_andn2_saveexec_b32 s25, s19
	s_cbranch_execz .LBB4_651
; %bb.650:
	s_getpc_b64 s[4:5]
	s_add_u32 s4, s4, __PRETTY_FUNCTION__._ZN10PrimitivesIa7FuncSumIaE12FanSymmetricILi1EELi0E11ProtoSimpleILi2ELi2ELi0ELi2ELi0ELi0EELi0ELb0ELi0ELi0ELi0EEC2EiiPKiS8_PKvPvmhhhP15ncclDevWorkCollP14ncclDevWorkP2pii@rel32@lo+4
	s_addc_u32 s5, s5, __PRETTY_FUNCTION__._ZN10PrimitivesIa7FuncSumIaE12FanSymmetricILi1EELi0E11ProtoSimpleILi2ELi2ELi0ELi2ELi0ELi0EELi0ELb0ELi0ELi0ELi0EEC2EiiPKiS8_PKvPvmhhhP15ncclDevWorkCollP14ncclDevWorkP2pii@rel32@hi+12
	v_mov_b32_e32 v0, s4
	v_mov_b32_e32 v1, s5
	s_getpc_b64 s[6:7]
	s_add_u32 s6, s6, __assert_fail@rel32@lo+4
	s_addc_u32 s7, s7, __assert_fail@rel32@hi+12
	s_swappc_b64 s[30:31], s[6:7]
	; divergent unreachable
.LBB4_651:
	s_or_b32 exec_lo, exec_lo, s25
	s_clause 0x16
	buffer_load_dword v78, off, s[0:3], s33
	buffer_load_dword v77, off, s[0:3], s33 offset:4
	buffer_load_dword v76, off, s[0:3], s33 offset:8
	;; [unrolled: 1-line block ×22, first 2 shown]
	v_readlane_b32 s30, v79, 0
	v_readlane_b32 s31, v79, 1
	s_mov_b32 s32, s33
	s_or_saveexec_b32 s4, -1
	buffer_load_dword v79, off, s[0:3], s33 offset:92 ; 4-byte Folded Reload
	s_mov_b32 exec_lo, s4
	s_mov_b32 s33, s74
	s_waitcnt vmcnt(0) lgkmcnt(0)
	s_setpc_b64 s[30:31]
.Lfunc_end4:
	.size	_ZN12_GLOBAL__N_17runRingIa7FuncSumIaE11ProtoSimpleILi2ELi2ELi0ELi2ELi0ELi0EELi0ELi2ELi0EEEviiP15ncclDevWorkColl, .Lfunc_end4-_ZN12_GLOBAL__N_17runRingIa7FuncSumIaE11ProtoSimpleILi2ELi2ELi0ELi2ELi0ELi0EELi0ELi2ELi0EEEviiP15ncclDevWorkColl
                                        ; -- End function
	.set .L_ZN12_GLOBAL__N_17runRingIa7FuncSumIaE11ProtoSimpleILi2ELi2ELi0ELi2ELi0ELi0EELi0ELi2ELi0EEEviiP15ncclDevWorkColl.num_vgpr, max(120, .L__assert_fail.num_vgpr)
	.set .L_ZN12_GLOBAL__N_17runRingIa7FuncSumIaE11ProtoSimpleILi2ELi2ELi0ELi2ELi0ELi0EELi0ELi2ELi0EEEviiP15ncclDevWorkColl.num_agpr, max(0, .L__assert_fail.num_agpr)
	.set .L_ZN12_GLOBAL__N_17runRingIa7FuncSumIaE11ProtoSimpleILi2ELi2ELi0ELi2ELi0ELi0EELi0ELi2ELi0EEEviiP15ncclDevWorkColl.numbered_sgpr, max(75, .L__assert_fail.numbered_sgpr)
	.set .L_ZN12_GLOBAL__N_17runRingIa7FuncSumIaE11ProtoSimpleILi2ELi2ELi0ELi2ELi0ELi0EELi0ELi2ELi0EEEviiP15ncclDevWorkColl.num_named_barrier, max(0, .L__assert_fail.num_named_barrier)
	.set .L_ZN12_GLOBAL__N_17runRingIa7FuncSumIaE11ProtoSimpleILi2ELi2ELi0ELi2ELi0ELi0EELi0ELi2ELi0EEEviiP15ncclDevWorkColl.private_seg_size, 112+max(.L__assert_fail.private_seg_size)
	.set .L_ZN12_GLOBAL__N_17runRingIa7FuncSumIaE11ProtoSimpleILi2ELi2ELi0ELi2ELi0ELi0EELi0ELi2ELi0EEEviiP15ncclDevWorkColl.uses_vcc, or(1, .L__assert_fail.uses_vcc)
	.set .L_ZN12_GLOBAL__N_17runRingIa7FuncSumIaE11ProtoSimpleILi2ELi2ELi0ELi2ELi0ELi0EELi0ELi2ELi0EEEviiP15ncclDevWorkColl.uses_flat_scratch, or(1, .L__assert_fail.uses_flat_scratch)
	.set .L_ZN12_GLOBAL__N_17runRingIa7FuncSumIaE11ProtoSimpleILi2ELi2ELi0ELi2ELi0ELi0EELi0ELi2ELi0EEEviiP15ncclDevWorkColl.has_dyn_sized_stack, or(0, .L__assert_fail.has_dyn_sized_stack)
	.set .L_ZN12_GLOBAL__N_17runRingIa7FuncSumIaE11ProtoSimpleILi2ELi2ELi0ELi2ELi0ELi0EELi0ELi2ELi0EEEviiP15ncclDevWorkColl.has_recursion, or(1, .L__assert_fail.has_recursion)
	.set .L_ZN12_GLOBAL__N_17runRingIa7FuncSumIaE11ProtoSimpleILi2ELi2ELi0ELi2ELi0ELi0EELi0ELi2ELi0EEEviiP15ncclDevWorkColl.has_indirect_call, or(0, .L__assert_fail.has_indirect_call)
	.section	.AMDGPU.csdata,"",@progbits
; Function info:
; codeLenInByte = 25560
; TotalNumSgprs: 77
; NumVgprs: 120
; ScratchSize: 176
; MemoryBound: 0
	.text
	.p2align	2                               ; -- Begin function _Z50ncclDevFunc_AlltoAllPivot_RING_SIMPLE_Sum_i8_0_0_2v
	.type	_Z50ncclDevFunc_AlltoAllPivot_RING_SIMPLE_Sum_i8_0_0_2v,@function
_Z50ncclDevFunc_AlltoAllPivot_RING_SIMPLE_Sum_i8_0_0_2v: ; @_Z50ncclDevFunc_AlltoAllPivot_RING_SIMPLE_Sum_i8_0_0_2v
; %bb.0:
	s_waitcnt vmcnt(0) expcnt(0) lgkmcnt(0)
	s_mov_b32 s88, s33
	s_mov_b32 s33, s32
	s_or_saveexec_b32 s4, -1
	buffer_store_dword v43, off, s[0:3], s33 offset:16 ; 4-byte Folded Spill
	s_mov_b32 exec_lo, s4
	s_addk_i32 s32, 0x400
	buffer_store_dword v40, off, s[0:3], s33 offset:12 ; 4-byte Folded Spill
	buffer_store_dword v41, off, s[0:3], s33 offset:8 ; 4-byte Folded Spill
	;; [unrolled: 1-line block ×3, first 2 shown]
	buffer_store_dword v79, off, s[0:3], s33 ; 4-byte Folded Spill
	v_writelane_b32 v43, s30, 0
	v_writelane_b32 v43, s31, 1
	s_trap 2
	ds_read_b32 v0, v0
	v_mov_b32_e32 v40, v31
	s_waitcnt lgkmcnt(0)
	v_cmp_gt_i32_e32 vcc_lo, 1, v0
	s_cbranch_vccnz .LBB5_8
; %bb.1:
	v_and_b32_e32 v41, 0x3ff, v40
	v_mov_b32_e32 v42, 5
	s_mov_b32 s75, s12
	s_mov_b64 s[76:77], s[8:9]
	s_mov_b32 s78, 0
	s_inst_prefetch 0x1
	s_branch .LBB5_3
	.p2align	6
.LBB5_2:                                ;   in Loop: Header=BB5_3 Depth=1
	s_or_b32 exec_lo, exec_lo, s79
	s_trap 2
	ds_read_b32 v0, v0
	s_add_i32 s78, s78, 1
	s_waitcnt lgkmcnt(0)
	v_cmp_lt_i32_e32 vcc_lo, s78, v0
	s_cbranch_vccz .LBB5_8
.LBB5_3:                                ; =>This Inner Loop Header: Depth=1
	s_trap 2
	ds_read_b32 v0, v0
	s_cmp_eq_u32 s78, 0
	s_cbranch_scc1 .LBB5_6
; %bb.4:                                ;   in Loop: Header=BB5_3 Depth=1
	s_trap 2
	s_waitcnt lgkmcnt(0)
	ds_read_b32 v1, v0
	s_waitcnt lgkmcnt(0)
	v_xor_b32_e32 v1, v1, v0
	v_and_b32_e32 v1, 0xff0000, v1
	v_cmp_eq_u32_e32 vcc_lo, 0, v1
	s_cbranch_vccnz .LBB5_6
; %bb.5:                                ;   in Loop: Header=BB5_3 Depth=1
	s_waitcnt_vscnt null, 0x0
	s_barrier
	buffer_gl0_inv
	ds_read_b32 v0, v0
.LBB5_6:                                ;   in Loop: Header=BB5_3 Depth=1
	s_waitcnt lgkmcnt(0)
	v_lshlrev_b32_sdwa v1, v42, v0 dst_sel:DWORD dst_unused:UNUSED_PAD src0_sel:DWORD src1_sel:BYTE_2
	s_mov_b32 s79, exec_lo
	v_cmpx_lt_u32_e64 v41, v1
	s_cbranch_execz .LBB5_2
; %bb.7:                                ;   in Loop: Header=BB5_3 Depth=1
	s_mov_b64 s[4:5], src_shared_base
	v_mov_b32_e32 v31, v40
	v_mov_b32_e32 v0, v41
	;; [unrolled: 1-line block ×3, first 2 shown]
	s_getpc_b64 s[6:7]
	s_add_u32 s6, s6, _ZN12_GLOBAL__N_17runRingIa7FuncSumIaE11ProtoSimpleILi2ELi2ELi0ELi2ELi0ELi0EELi0ELi2ELi0EEEviiP15ncclDevWorkColl@rel32@lo+4
	s_addc_u32 s7, s7, _ZN12_GLOBAL__N_17runRingIa7FuncSumIaE11ProtoSimpleILi2ELi2ELi0ELi2ELi0ELi0EELi0ELi2ELi0EEEviiP15ncclDevWorkColl@rel32@hi+12
	s_mov_b64 s[8:9], s[76:77]
	s_mov_b32 s12, s75
	s_swappc_b64 s[30:31], s[6:7]
	s_branch .LBB5_2
.LBB5_8:
	s_inst_prefetch 0x2
	s_clause 0x3
	buffer_load_dword v79, off, s[0:3], s33
	buffer_load_dword v42, off, s[0:3], s33 offset:4
	buffer_load_dword v41, off, s[0:3], s33 offset:8
	;; [unrolled: 1-line block ×3, first 2 shown]
	v_readlane_b32 s30, v43, 0
	v_readlane_b32 s31, v43, 1
	s_mov_b32 s32, s33
	s_or_saveexec_b32 s4, -1
	buffer_load_dword v43, off, s[0:3], s33 offset:16 ; 4-byte Folded Reload
	s_mov_b32 exec_lo, s4
	s_mov_b32 s33, s88
	s_waitcnt vmcnt(0)
	s_setpc_b64 s[30:31]
.Lfunc_end5:
	.size	_Z50ncclDevFunc_AlltoAllPivot_RING_SIMPLE_Sum_i8_0_0_2v, .Lfunc_end5-_Z50ncclDevFunc_AlltoAllPivot_RING_SIMPLE_Sum_i8_0_0_2v
                                        ; -- End function
	.set .L_Z50ncclDevFunc_AlltoAllPivot_RING_SIMPLE_Sum_i8_0_0_2v.num_vgpr, max(80, .L_ZN12_GLOBAL__N_17runRingIa7FuncSumIaE11ProtoSimpleILi2ELi2ELi0ELi2ELi0ELi0EELi0ELi2ELi0EEEviiP15ncclDevWorkColl.num_vgpr)
	.set .L_Z50ncclDevFunc_AlltoAllPivot_RING_SIMPLE_Sum_i8_0_0_2v.num_agpr, max(0, .L_ZN12_GLOBAL__N_17runRingIa7FuncSumIaE11ProtoSimpleILi2ELi2ELi0ELi2ELi0ELi0EELi0ELi2ELi0EEEviiP15ncclDevWorkColl.num_agpr)
	.set .L_Z50ncclDevFunc_AlltoAllPivot_RING_SIMPLE_Sum_i8_0_0_2v.numbered_sgpr, max(89, .L_ZN12_GLOBAL__N_17runRingIa7FuncSumIaE11ProtoSimpleILi2ELi2ELi0ELi2ELi0ELi0EELi0ELi2ELi0EEEviiP15ncclDevWorkColl.numbered_sgpr)
	.set .L_Z50ncclDevFunc_AlltoAllPivot_RING_SIMPLE_Sum_i8_0_0_2v.num_named_barrier, max(0, .L_ZN12_GLOBAL__N_17runRingIa7FuncSumIaE11ProtoSimpleILi2ELi2ELi0ELi2ELi0ELi0EELi0ELi2ELi0EEEviiP15ncclDevWorkColl.num_named_barrier)
	.set .L_Z50ncclDevFunc_AlltoAllPivot_RING_SIMPLE_Sum_i8_0_0_2v.private_seg_size, 32+max(.L_ZN12_GLOBAL__N_17runRingIa7FuncSumIaE11ProtoSimpleILi2ELi2ELi0ELi2ELi0ELi0EELi0ELi2ELi0EEEviiP15ncclDevWorkColl.private_seg_size)
	.set .L_Z50ncclDevFunc_AlltoAllPivot_RING_SIMPLE_Sum_i8_0_0_2v.uses_vcc, or(1, .L_ZN12_GLOBAL__N_17runRingIa7FuncSumIaE11ProtoSimpleILi2ELi2ELi0ELi2ELi0ELi0EELi0ELi2ELi0EEEviiP15ncclDevWorkColl.uses_vcc)
	.set .L_Z50ncclDevFunc_AlltoAllPivot_RING_SIMPLE_Sum_i8_0_0_2v.uses_flat_scratch, or(0, .L_ZN12_GLOBAL__N_17runRingIa7FuncSumIaE11ProtoSimpleILi2ELi2ELi0ELi2ELi0ELi0EELi0ELi2ELi0EEEviiP15ncclDevWorkColl.uses_flat_scratch)
	.set .L_Z50ncclDevFunc_AlltoAllPivot_RING_SIMPLE_Sum_i8_0_0_2v.has_dyn_sized_stack, or(0, .L_ZN12_GLOBAL__N_17runRingIa7FuncSumIaE11ProtoSimpleILi2ELi2ELi0ELi2ELi0ELi0EELi0ELi2ELi0EEEviiP15ncclDevWorkColl.has_dyn_sized_stack)
	.set .L_Z50ncclDevFunc_AlltoAllPivot_RING_SIMPLE_Sum_i8_0_0_2v.has_recursion, or(1, .L_ZN12_GLOBAL__N_17runRingIa7FuncSumIaE11ProtoSimpleILi2ELi2ELi0ELi2ELi0ELi0EELi0ELi2ELi0EEEviiP15ncclDevWorkColl.has_recursion)
	.set .L_Z50ncclDevFunc_AlltoAllPivot_RING_SIMPLE_Sum_i8_0_0_2v.has_indirect_call, or(0, .L_ZN12_GLOBAL__N_17runRingIa7FuncSumIaE11ProtoSimpleILi2ELi2ELi0ELi2ELi0ELi0EELi0ELi2ELi0EEEviiP15ncclDevWorkColl.has_indirect_call)
	.section	.AMDGPU.csdata,"",@progbits
; Function info:
; codeLenInByte = 476
; TotalNumSgprs: 91
; NumVgprs: 120
; ScratchSize: 208
; MemoryBound: 0
	.text
	.p2align	2                               ; -- Begin function _ZN12_GLOBAL__N_17runRingIa7FuncSumIaE11ProtoSimpleILi2ELi2ELi0ELi4ELi0ELi0EELi0ELi4ELi0EEEviiP15ncclDevWorkColl
	.type	_ZN12_GLOBAL__N_17runRingIa7FuncSumIaE11ProtoSimpleILi2ELi2ELi0ELi4ELi0ELi0EELi0ELi4ELi0EEEviiP15ncclDevWorkColl,@function
_ZN12_GLOBAL__N_17runRingIa7FuncSumIaE11ProtoSimpleILi2ELi2ELi0ELi4ELi0ELi0EELi0ELi4ELi0EEEviiP15ncclDevWorkColl: ; @_ZN12_GLOBAL__N_17runRingIa7FuncSumIaE11ProtoSimpleILi2ELi2ELi0ELi4ELi0ELi0EELi0ELi4ELi0EEEviiP15ncclDevWorkColl
; %bb.0:
	s_waitcnt vmcnt(0) expcnt(0) lgkmcnt(0)
	s_mov_b32 s74, s33
	s_mov_b32 s33, s32
	s_or_saveexec_b32 s4, -1
	buffer_store_dword v120, off, s[0:3], s33 offset:160 ; 4-byte Folded Spill
	s_mov_b32 exec_lo, s4
	s_addk_i32 s32, 0x1600
	buffer_store_dword v40, off, s[0:3], s33 offset:156 ; 4-byte Folded Spill
	buffer_store_dword v41, off, s[0:3], s33 offset:152 ; 4-byte Folded Spill
	;; [unrolled: 1-line block ×39, first 2 shown]
	buffer_store_dword v111, off, s[0:3], s33 ; 4-byte Folded Spill
	v_writelane_b32 v120, s30, 0
	v_writelane_b32 v120, s31, 1
	s_trap 2
	s_clause 0x2
	flat_load_dword v10, v[2:3]
	flat_load_dwordx4 v[4:7], v[2:3] offset:72
	flat_load_dwordx2 v[8:9], v[2:3] offset:88
	ds_read_b32 v14, v0
	s_mov_b32 s4, exec_lo
                                        ; implicit-def: $vgpr24_vgpr25
	s_waitcnt lgkmcnt(0)
	v_readfirstlane_b32 s18, v14
	s_waitcnt vmcnt(2)
	v_and_b32_e32 v12, 0xff, v10
	v_bfe_u32 v13, v10, 8, 8
	v_cmpx_ne_u32_e64 v14, v12
	s_xor_b32 s4, exec_lo, s4
	s_cbranch_execz .LBB6_6
; %bb.1:
	flat_load_dwordx2 v[10:11], v[2:3] offset:96
	s_mov_b32 s5, exec_lo
                                        ; implicit-def: $vgpr24_vgpr25
	v_cmpx_ne_u32_e64 v14, v13
	s_xor_b32 s5, exec_lo, s5
	s_cbranch_execz .LBB6_3
; %bb.2:
	s_waitcnt vmcnt(0) lgkmcnt(0)
	v_lshrrev_b64 v[24:25], 12, v[10:11]
                                        ; implicit-def: $vgpr10_vgpr11
.LBB6_3:
	s_andn2_saveexec_b32 s5, s5
	s_cbranch_execz .LBB6_5
; %bb.4:
	s_waitcnt vmcnt(0) lgkmcnt(0)
	v_lshrrev_b32_e32 v24, 1, v11
.LBB6_5:
	s_or_b32 exec_lo, exec_lo, s5
.LBB6_6:
	s_andn2_saveexec_b32 s4, s4
	s_cbranch_execz .LBB6_8
; %bb.7:
	s_waitcnt vmcnt(0) lgkmcnt(0)
	flat_load_dwordx2 v[10:11], v[2:3] offset:96
	s_waitcnt vmcnt(0) lgkmcnt(0)
	v_lshlrev_b64 v[24:25], 9, v[10:11]
.LBB6_8:
	s_or_b32 exec_lo, exec_lo, s4
	s_waitcnt vmcnt(0) lgkmcnt(0)
	flat_load_ushort v10, v[2:3] offset:8
	v_xad_u32 v11, v12, -1, v13
                                        ; implicit-def: $vgpr27_vgpr28
	v_ashrrev_i32_e32 v15, 31, v11
	v_mul_lo_u32 v7, v7, v11
	v_mad_u64_u32 v[4:5], null, v6, v11, v[4:5]
	v_mul_lo_u32 v6, v6, v15
	v_add_co_u32 v30, vcc_lo, v4, v8
	v_add3_u32 v5, v7, v5, v6
	v_add_co_ci_u32_e64 v85, null, v5, v9, vcc_lo
	v_sub_co_u32 v6, vcc_lo, 0, v30
	v_sub_co_ci_u32_e64 v4, null, 0, v85, vcc_lo
	v_and_b32_e32 v6, v30, v6
	v_and_b32_e32 v4, v85, v4
	v_cvt_f64_u32_e32 v[6:7], v6
	v_cvt_f64_u32_e32 v[4:5], v4
	v_ldexp_f64 v[4:5], v[4:5], 32
	v_add_f64 v[4:5], v[4:5], v[6:7]
	v_min_f64 v[4:5], 0x40700000, v[4:5]
	v_cvt_i32_f64_e32 v50, v[4:5]
	v_ashrrev_i32_e32 v51, 31, v50
	v_or_b32_e32 v5, v85, v51
	s_waitcnt vmcnt(0) lgkmcnt(0)
	v_lshrrev_b32_e32 v32, 1, v10
	v_lshlrev_b32_e32 v6, 1, v32
	v_sub_nc_u32_e32 v7, 0, v6
	v_max_i32_e32 v8, v6, v7
	v_cvt_f32_u32_e32 v7, v8
	v_rcp_iflag_f32_e32 v7, v7
	v_mul_f32_e32 v4, 0x4f7ffffe, v7
	v_sub_nc_u32_e32 v7, v14, v12
	v_cvt_u32_f32_e32 v9, v4
	v_sub_nc_u32_e32 v4, 0, v8
	v_sub_nc_u32_e32 v10, 0, v7
	v_mul_lo_u32 v4, v4, v9
	v_max_i32_e32 v33, v7, v10
	v_mul_hi_u32 v11, v9, v4
	v_mov_b32_e32 v4, 0
	v_cmp_ne_u64_e32 vcc_lo, 0, v[4:5]
	v_add_nc_u32_e32 v4, v9, v11
	s_and_saveexec_b32 s4, vcc_lo
	s_xor_b32 s5, exec_lo, s4
	s_cbranch_execz .LBB6_10
; %bb.9:
	v_cvt_f32_u32_e32 v5, v50
	v_cvt_f32_u32_e32 v9, v51
	v_sub_co_u32 v18, vcc_lo, 0, v50
	v_sub_co_ci_u32_e64 v19, null, 0, v51, vcc_lo
	v_fmamk_f32 v5, v9, 0x4f800000, v5
	v_rcp_f32_e32 v5, v5
	v_mul_f32_e32 v5, 0x5f7ffffc, v5
	v_mul_f32_e32 v9, 0x2f800000, v5
	v_trunc_f32_e32 v9, v9
	v_fmamk_f32 v5, v9, 0xcf800000, v5
	v_cvt_u32_f32_e32 v20, v9
	v_cvt_u32_f32_e32 v5, v5
	v_mul_lo_u32 v11, v18, v20
	v_mul_lo_u32 v14, v19, v5
	v_mad_u64_u32 v[9:10], null, v18, v5, 0
	v_add3_u32 v16, v10, v11, v14
	v_mul_hi_u32 v21, v5, v9
	v_mad_u64_u32 v[14:15], null, v20, v9, 0
	v_mad_u64_u32 v[10:11], null, v5, v16, 0
	;; [unrolled: 1-line block ×3, first 2 shown]
	v_add_co_u32 v9, vcc_lo, v21, v10
	v_add_co_ci_u32_e64 v10, null, 0, v11, vcc_lo
	v_add_co_u32 v9, vcc_lo, v9, v14
	v_add_co_ci_u32_e32 v9, vcc_lo, v10, v15, vcc_lo
	v_add_co_ci_u32_e32 v10, vcc_lo, 0, v17, vcc_lo
	v_add_co_u32 v9, vcc_lo, v9, v16
	v_add_co_ci_u32_e64 v10, null, 0, v10, vcc_lo
	v_add_co_u32 v5, vcc_lo, v5, v9
	v_add_co_ci_u32_e64 v20, null, v20, v10, vcc_lo
	v_mul_lo_u32 v11, v19, v5
	v_mad_u64_u32 v[9:10], null, v18, v5, 0
	v_mul_lo_u32 v14, v18, v20
	v_mul_hi_u32 v18, v5, v9
	v_add3_u32 v16, v10, v14, v11
	v_mad_u64_u32 v[14:15], null, v20, v9, 0
	v_mad_u64_u32 v[10:11], null, v5, v16, 0
	;; [unrolled: 1-line block ×3, first 2 shown]
	v_add_co_u32 v9, vcc_lo, v18, v10
	v_add_co_ci_u32_e64 v10, null, 0, v11, vcc_lo
	v_add_co_u32 v9, vcc_lo, v9, v14
	v_add_co_ci_u32_e32 v9, vcc_lo, v10, v15, vcc_lo
	v_add_co_ci_u32_e32 v10, vcc_lo, 0, v17, vcc_lo
	v_add_co_u32 v9, vcc_lo, v9, v16
	v_add_co_ci_u32_e64 v10, null, 0, v10, vcc_lo
	v_add_co_u32 v5, vcc_lo, v5, v9
	v_add_co_ci_u32_e64 v11, null, v20, v10, vcc_lo
	v_mul_hi_u32 v18, v30, v5
	v_mad_u64_u32 v[14:15], null, v85, v5, 0
	v_mad_u64_u32 v[9:10], null, v30, v11, 0
	;; [unrolled: 1-line block ×3, first 2 shown]
	v_add_co_u32 v5, vcc_lo, v18, v9
	v_add_co_ci_u32_e64 v9, null, 0, v10, vcc_lo
	v_add_co_u32 v5, vcc_lo, v5, v14
	v_add_co_ci_u32_e32 v5, vcc_lo, v9, v15, vcc_lo
	v_add_co_ci_u32_e32 v9, vcc_lo, 0, v17, vcc_lo
	v_add_co_u32 v5, vcc_lo, v5, v16
	v_add_co_ci_u32_e64 v11, null, 0, v9, vcc_lo
	v_mul_lo_u32 v14, v51, v5
	v_mad_u64_u32 v[9:10], null, v50, v5, 0
	v_mul_lo_u32 v15, v50, v11
	v_sub_co_u32 v9, vcc_lo, v30, v9
	v_add3_u32 v10, v10, v15, v14
	v_add_co_u32 v15, s4, v5, 2
	v_add_co_ci_u32_e64 v16, null, 0, v11, s4
	v_sub_nc_u32_e32 v14, v85, v10
	v_sub_co_u32 v17, s4, v9, v50
	v_sub_co_ci_u32_e64 v10, null, v85, v10, vcc_lo
	v_sub_co_ci_u32_e64 v14, null, v14, v51, vcc_lo
	v_cmp_ge_u32_e32 vcc_lo, v17, v50
	v_subrev_co_ci_u32_e64 v14, null, 0, v14, s4
	v_cndmask_b32_e64 v17, 0, -1, vcc_lo
	v_cmp_eq_u32_e64 s4, v10, v51
	v_cmp_ge_u32_e32 vcc_lo, v14, v51
	v_cndmask_b32_e64 v18, 0, -1, vcc_lo
	v_cmp_ge_u32_e32 vcc_lo, v9, v50
	v_cndmask_b32_e64 v9, 0, -1, vcc_lo
	;; [unrolled: 2-line block ×3, first 2 shown]
	v_cmp_eq_u32_e32 vcc_lo, v14, v51
	v_cndmask_b32_e64 v9, v19, v9, s4
	v_cndmask_b32_e32 v14, v18, v17, vcc_lo
	v_add_co_u32 v17, vcc_lo, v5, 1
	v_add_co_ci_u32_e64 v18, null, 0, v11, vcc_lo
	v_cmp_ne_u32_e32 vcc_lo, 0, v14
	v_cndmask_b32_e32 v10, v18, v16, vcc_lo
	v_cndmask_b32_e32 v14, v17, v15, vcc_lo
	v_cmp_ne_u32_e32 vcc_lo, 0, v9
	v_cndmask_b32_e32 v28, v11, v10, vcc_lo
	v_cndmask_b32_e32 v27, v5, v14, vcc_lo
.LBB6_10:
	s_or_saveexec_b32 s4, s5
	v_mad_u64_u32 v[4:5], null, v33, v4, 0
	s_xor_b32 exec_lo, exec_lo, s4
	s_cbranch_execz .LBB6_12
; %bb.11:
	v_cvt_f32_u32_e32 v4, v50
	v_sub_nc_u32_e32 v9, 0, v50
	v_mov_b32_e32 v28, 0
	v_rcp_iflag_f32_e32 v4, v4
	v_mul_f32_e32 v4, 0x4f7ffffe, v4
	v_cvt_u32_f32_e32 v4, v4
	v_mul_lo_u32 v9, v9, v4
	v_mul_hi_u32 v9, v4, v9
	v_add_nc_u32_e32 v4, v4, v9
	v_mul_hi_u32 v4, v30, v4
	v_mul_lo_u32 v9, v4, v50
	v_add_nc_u32_e32 v10, 1, v4
	v_sub_nc_u32_e32 v9, v30, v9
	v_sub_nc_u32_e32 v11, v9, v50
	v_cmp_ge_u32_e32 vcc_lo, v9, v50
	v_cndmask_b32_e32 v9, v9, v11, vcc_lo
	v_cndmask_b32_e32 v4, v4, v10, vcc_lo
	v_cmp_ge_u32_e32 vcc_lo, v9, v50
	v_add_nc_u32_e32 v10, 1, v4
	v_cndmask_b32_e32 v27, v4, v10, vcc_lo
.LBB6_12:
	s_or_b32 exec_lo, exec_lo, s4
	v_sub_nc_u32_e32 v4, v13, v12
                                        ; implicit-def: $vgpr38_vgpr39
	s_mov_b32 s4, exec_lo
	v_add_nc_u16 v4, v4, 1
	v_lshrrev_b16 v9, 15, v4
	v_add_nc_u16 v4, v4, v9
	v_mov_b32_e32 v9, 0
	v_ashrrev_i16 v4, 1, v4
	v_bfe_i32 v34, v4, 0, 16
	v_ashrrev_i32_e32 v4, 31, v34
	v_or_b32_e32 v10, v28, v4
	v_cmpx_ne_u64_e32 0, v[9:10]
	s_xor_b32 s5, exec_lo, s4
	s_cbranch_execz .LBB6_14
; %bb.13:
	v_ashrrev_i32_e32 v16, 31, v4
	v_add_co_u32 v9, vcc_lo, v34, v16
	v_add_co_ci_u32_e64 v4, null, v4, v16, vcc_lo
	v_xor_b32_e32 v17, v9, v16
	v_xor_b32_e32 v4, v4, v16
	v_cvt_f32_u32_e32 v9, v17
	v_sub_co_u32 v18, vcc_lo, 0, v17
	v_cvt_f32_u32_e32 v10, v4
	v_sub_co_ci_u32_e64 v19, null, 0, v4, vcc_lo
	v_fmamk_f32 v9, v10, 0x4f800000, v9
	v_rcp_f32_e32 v9, v9
	v_mul_f32_e32 v9, 0x5f7ffffc, v9
	v_mul_f32_e32 v10, 0x2f800000, v9
	v_trunc_f32_e32 v10, v10
	v_fmamk_f32 v9, v10, 0xcf800000, v9
	v_cvt_u32_f32_e32 v20, v10
	v_cvt_u32_f32_e32 v21, v9
	v_mul_lo_u32 v11, v18, v20
	v_mul_lo_u32 v12, v19, v21
	v_mad_u64_u32 v[9:10], null, v18, v21, 0
	v_add3_u32 v14, v10, v11, v12
	v_mul_hi_u32 v22, v21, v9
	v_mad_u64_u32 v[12:13], null, v20, v9, 0
	v_mad_u64_u32 v[10:11], null, v21, v14, 0
	;; [unrolled: 1-line block ×3, first 2 shown]
	v_add_co_u32 v9, vcc_lo, v22, v10
	v_add_co_ci_u32_e64 v10, null, 0, v11, vcc_lo
	v_add_co_u32 v9, vcc_lo, v9, v12
	v_add_co_ci_u32_e32 v9, vcc_lo, v10, v13, vcc_lo
	v_add_co_ci_u32_e32 v10, vcc_lo, 0, v15, vcc_lo
	v_add_co_u32 v9, vcc_lo, v9, v14
	v_add_co_ci_u32_e64 v10, null, 0, v10, vcc_lo
	v_add_co_u32 v21, vcc_lo, v21, v9
	v_add_co_ci_u32_e64 v20, null, v20, v10, vcc_lo
	v_mul_lo_u32 v11, v19, v21
	v_mad_u64_u32 v[9:10], null, v18, v21, 0
	v_mul_lo_u32 v12, v18, v20
	v_mul_hi_u32 v18, v21, v9
	v_add3_u32 v14, v10, v12, v11
	v_mad_u64_u32 v[12:13], null, v20, v9, 0
	v_mad_u64_u32 v[10:11], null, v21, v14, 0
	;; [unrolled: 1-line block ×3, first 2 shown]
	v_add_co_u32 v9, vcc_lo, v18, v10
	v_add_co_ci_u32_e64 v10, null, 0, v11, vcc_lo
	v_ashrrev_i32_e32 v18, 31, v28
	v_add_co_u32 v9, vcc_lo, v9, v12
	v_add_co_ci_u32_e32 v9, vcc_lo, v10, v13, vcc_lo
	v_add_co_ci_u32_e32 v10, vcc_lo, 0, v15, vcc_lo
	v_add_co_u32 v11, vcc_lo, v27, v18
	v_add_co_ci_u32_e64 v12, null, v28, v18, vcc_lo
	v_add_co_u32 v9, vcc_lo, v9, v14
	v_add_co_ci_u32_e64 v10, null, 0, v10, vcc_lo
	v_xor_b32_e32 v15, v11, v18
	v_add_co_u32 v11, vcc_lo, v21, v9
	v_add_co_ci_u32_e64 v13, null, v20, v10, vcc_lo
	v_xor_b32_e32 v19, v12, v18
	v_mul_hi_u32 v20, v15, v11
	v_mad_u64_u32 v[9:10], null, v15, v13, 0
	v_mad_u64_u32 v[11:12], null, v19, v11, 0
	;; [unrolled: 1-line block ×3, first 2 shown]
	v_add_co_u32 v9, vcc_lo, v20, v9
	v_add_co_ci_u32_e64 v10, null, 0, v10, vcc_lo
	v_add_co_u32 v9, vcc_lo, v9, v11
	v_add_co_ci_u32_e32 v9, vcc_lo, v10, v12, vcc_lo
	v_add_co_ci_u32_e32 v10, vcc_lo, 0, v14, vcc_lo
	v_add_co_u32 v11, vcc_lo, v9, v13
	v_add_co_ci_u32_e64 v12, null, 0, v10, vcc_lo
	v_mul_lo_u32 v13, v4, v11
	v_mad_u64_u32 v[9:10], null, v17, v11, 0
	v_mul_lo_u32 v14, v17, v12
	v_sub_co_u32 v9, vcc_lo, v15, v9
	v_add3_u32 v10, v10, v14, v13
	v_add_co_u32 v14, s4, v11, 2
	v_add_co_ci_u32_e64 v15, null, 0, v12, s4
	v_sub_nc_u32_e32 v13, v19, v10
	v_sub_co_u32 v20, s4, v9, v17
	v_sub_co_ci_u32_e64 v10, null, v19, v10, vcc_lo
	v_sub_co_ci_u32_e64 v13, null, v13, v4, vcc_lo
	v_cmp_ge_u32_e32 vcc_lo, v20, v17
	v_subrev_co_ci_u32_e64 v13, null, 0, v13, s4
	v_cndmask_b32_e64 v19, 0, -1, vcc_lo
	v_cmp_ge_u32_e32 vcc_lo, v13, v4
	v_cndmask_b32_e64 v20, 0, -1, vcc_lo
	v_cmp_ge_u32_e32 vcc_lo, v9, v17
	v_cndmask_b32_e64 v9, 0, -1, vcc_lo
	v_cmp_ge_u32_e32 vcc_lo, v10, v4
	v_cndmask_b32_e64 v17, 0, -1, vcc_lo
	v_cmp_eq_u32_e32 vcc_lo, v13, v4
	v_cndmask_b32_e32 v13, v20, v19, vcc_lo
	v_add_co_u32 v19, vcc_lo, v11, 1
	v_add_co_ci_u32_e64 v20, null, 0, v12, vcc_lo
	v_cmp_eq_u32_e32 vcc_lo, v10, v4
	v_xor_b32_e32 v10, v18, v16
	v_cndmask_b32_e32 v4, v17, v9, vcc_lo
	v_cmp_ne_u32_e32 vcc_lo, 0, v13
	v_cmp_ne_u32_e64 s4, 0, v4
	v_cndmask_b32_e32 v4, v19, v14, vcc_lo
	v_cndmask_b32_e32 v9, v20, v15, vcc_lo
	v_cndmask_b32_e64 v4, v11, v4, s4
	v_cndmask_b32_e64 v9, v12, v9, s4
	v_xor_b32_e32 v4, v4, v10
	v_xor_b32_e32 v9, v9, v10
	v_sub_co_u32 v38, vcc_lo, v4, v10
	v_sub_co_ci_u32_e64 v39, null, v9, v10, vcc_lo
.LBB6_14:
	s_andn2_saveexec_b32 s4, s5
	s_cbranch_execz .LBB6_16
; %bb.15:
	v_cvt_f32_u32_e32 v4, v34
	v_sub_nc_u32_e32 v9, 0, v34
	v_mov_b32_e32 v39, 0
	v_rcp_iflag_f32_e32 v4, v4
	v_mul_f32_e32 v4, 0x4f7ffffe, v4
	v_cvt_u32_f32_e32 v4, v4
	v_mul_lo_u32 v9, v9, v4
	v_mul_hi_u32 v9, v4, v9
	v_add_nc_u32_e32 v4, v4, v9
	v_mul_hi_u32 v4, v27, v4
	v_mul_lo_u32 v9, v4, v34
	v_add_nc_u32_e32 v10, 1, v4
	v_sub_nc_u32_e32 v9, v27, v9
	v_sub_nc_u32_e32 v11, v9, v34
	v_cmp_ge_u32_e32 vcc_lo, v9, v34
	v_cndmask_b32_e32 v9, v9, v11, vcc_lo
	v_cndmask_b32_e32 v4, v4, v10, vcc_lo
	v_cmp_ge_u32_e32 vcc_lo, v9, v34
	v_add_nc_u32_e32 v10, 1, v4
	v_cndmask_b32_e32 v38, v4, v10, vcc_lo
.LBB6_16:
	s_or_b32 exec_lo, exec_lo, s4
	s_trap 2
	ds_read_b64 v[9:10], v0
	v_mul_lo_u32 v4, v5, v8
	s_mov_b32 s7, exec_lo
	v_sub_nc_u32_e32 v11, v33, v4
	v_cmp_ge_u32_e64 s5, v11, v8
	s_waitcnt lgkmcnt(0)
	v_cmp_ne_u32_e32 vcc_lo, -1, v9
	v_sub_nc_u32_e32 v9, v11, v8
	v_cndmask_b32_e64 v52, 0, 1, vcc_lo
	v_cmp_ne_u32_e32 vcc_lo, -1, v10
	v_cndmask_b32_e64 v9, v11, v9, s5
	v_add_co_ci_u32_e64 v4, null, 0, v52, vcc_lo
	v_cmp_ge_u32_e64 s4, v9, v8
	v_lshlrev_b32_e32 v10, 1, v4
	v_cmpx_le_u32_e64 v10, v1
	s_xor_b32 s19, exec_lo, s7
	s_cbranch_execz .LBB6_649
; %bb.17:
	flat_load_dwordx4 v[8:11], v[2:3] offset:16
	s_trap 2
	s_load_dword s6, s[8:9], 0x0
	v_mov_b32_e32 v12, 0
	v_add_nc_u32_e32 v13, 1, v5
	v_ashrrev_i32_e32 v35, 31, v7
	ds_read_b32 v15, v0
	v_mov_b32_e32 v87, 4
	v_cndmask_b32_e64 v5, v5, v13, s5
	v_bfe_i32 v13, v32, 30, 1
	s_mov_b32 s5, exec_lo
	v_add_nc_u32_e32 v14, 1, v5
	v_xor_b32_e32 v13, v35, v13
	v_cndmask_b32_e64 v5, v5, v14, s4
	v_sub_nc_u32_e32 v14, 0, v32
	s_waitcnt lgkmcnt(0)
	s_cmp_lt_u32 s12, s6
	s_cselect_b32 s6, 12, 18
	v_xor_b32_e32 v5, v5, v13
	s_add_u32 s6, s8, s6
	s_addc_u32 s7, s9, 0
	v_readfirstlane_b32 s10, v15
	global_load_ushort v86, v12, s[6:7]
	v_cvt_f32_u32_e32 v12, v32
	v_sub_nc_u32_e32 v36, v5, v13
	v_rcp_iflag_f32_e32 v12, v12
	v_mul_lo_u32 v6, v36, v6
	v_sub_nc_u32_e32 v53, v7, v6
	v_mul_f32_e32 v12, 0x4f7ffffe, v12
	v_sub_nc_u32_e32 v6, 0, v53
	v_cvt_u32_f32_e32 v12, v12
	v_mul_lo_u32 v5, v14, v12
	v_mul_hi_u32 v5, v12, v5
	v_add_nc_u32_e32 v5, v12, v5
	v_cmpx_ge_i32_e64 v0, v52
	s_cbranch_execz .LBB6_27
; %bb.18:
	v_cmp_ge_u32_e64 s4, v0, v4
                                        ; implicit-def: $vgpr87
	s_and_saveexec_b32 s6, s4
	s_xor_b32 s4, exec_lo, s6
	s_cbranch_execz .LBB6_24
; %bb.19:
	v_cndmask_b32_e64 v7, 0, 1, vcc_lo
	s_mov_b32 s6, exec_lo
	v_sub_nc_u32_e32 v7, v1, v7
	v_cmpx_ge_u32_e64 v0, v7
	s_xor_b32 s6, exec_lo, s6
; %bb.20:
                                        ; implicit-def: $vgpr4
; %bb.21:
	s_or_saveexec_b32 s6, s6
	v_mov_b32_e32 v87, 16
	s_xor_b32 exec_lo, exec_lo, s6
; %bb.22:
	v_sub_nc_u32_e32 v4, v1, v4
	v_cmp_lt_i32_e32 vcc_lo, v0, v4
	v_cndmask_b32_e64 v87, 32, 0, vcc_lo
; %bb.23:
	s_or_b32 exec_lo, exec_lo, s6
.LBB6_24:
	s_andn2_saveexec_b32 s4, s4
; %bb.25:
	v_mov_b32_e32 v87, 8
; %bb.26:
	s_or_b32 exec_lo, exec_lo, s4
.LBB6_27:
	s_or_b32 exec_lo, exec_lo, s5
	v_and_b32_e32 v4, 36, v87
	v_max_i32_e32 v37, v53, v6
	v_mov_b32_e32 v6, -1
	v_cmp_ne_u32_e32 vcc_lo, 0, v4
	s_and_saveexec_b32 s4, vcc_lo
	s_cbranch_execz .LBB6_29
; %bb.28:
	s_trap 2
	ds_read_b32 v6, v0
.LBB6_29:
	s_or_b32 exec_lo, exec_lo, s4
	v_mad_u64_u32 v[25:26], null, v33, v5, 0
	v_mad_u64_u32 v[28:29], null, v37, v5, 0
	v_and_b32_e32 v4, 24, v87
	s_mov_b32 s5, exec_lo
	v_cmpx_ne_u32_e32 0, v4
	s_cbranch_execz .LBB6_31
; %bb.30:
	s_trap 2
	s_waitcnt lgkmcnt(0)
	ds_read_b32 v6, v0
.LBB6_31:
	s_or_b32 exec_lo, exec_lo, s5
	v_mov_b32_e32 v14, 0
	v_mov_b32_e32 v4, 0
	;; [unrolled: 1-line block ×4, first 2 shown]
	s_waitcnt lgkmcnt(0)
	v_ashrrev_i32_e32 v7, 31, v6
                                        ; implicit-def: $vgpr12_vgpr13
                                        ; implicit-def: $vgpr96
                                        ; implicit-def: $vgpr22_vgpr23
                                        ; implicit-def: $vgpr48_vgpr49
                                        ; implicit-def: $vgpr18_vgpr19
                                        ; implicit-def: $vgpr16_vgpr17
	s_and_saveexec_b32 s4, vcc_lo
	s_cbranch_execz .LBB6_41
; %bb.32:
	s_trap 2
	ds_read_b64 v[4:5], v0
	v_lshlrev_b64 v[12:13], 3, v[6:7]
	s_mov_b32 s5, exec_lo
	s_waitcnt lgkmcnt(0)
	v_add_co_u32 v4, vcc_lo, v4, v12
	v_add_co_ci_u32_e64 v5, null, v5, v13, vcc_lo
                                        ; implicit-def: $vgpr12_vgpr13
	flat_load_dwordx2 v[20:21], v[4:5]
	s_waitcnt vmcnt(0) lgkmcnt(0)
	flat_load_dword v4, v[20:21] offset:640
	s_waitcnt vmcnt(0) lgkmcnt(0)
	v_cmpx_eq_u32_e32 1, v4
	s_cbranch_execz .LBB6_34
; %bb.33:
	flat_load_dwordx2 v[12:13], v[20:21] offset:648
	v_or_b32_e32 v87, 0x2000, v87
	s_waitcnt vmcnt(0) lgkmcnt(0)
	flat_load_dwordx2 v[4:5], v[12:13]
	s_trap 2
	s_waitcnt vmcnt(0) lgkmcnt(0)
	ds_write_b64 v0, v[4:5]
	flat_load_dwordx2 v[4:5], v[12:13] offset:8
	s_waitcnt vmcnt(0) lgkmcnt(0)
	ds_write_b64 v0, v[4:5]
	flat_load_dwordx2 v[4:5], v[12:13] offset:16
	s_waitcnt vmcnt(0) lgkmcnt(0)
	ds_write_b64 v0, v[4:5]
.LBB6_34:
	s_or_b32 exec_lo, exec_lo, s5
	flat_load_dwordx2 v[4:5], v[20:21] offset:608
	v_and_b32_e32 v14, 32, v87
	s_mov_b32 s5, exec_lo
                                        ; implicit-def: $vgpr16_vgpr17
	s_waitcnt vmcnt(0) lgkmcnt(0)
	v_add_co_u32 v4, vcc_lo, v4, 3
	v_add_co_ci_u32_e64 v49, null, 0, v5, vcc_lo
	v_and_b32_e32 v48, -4, v4
	v_cmpx_ne_u32_e32 0, v14
	s_cbranch_execz .LBB6_36
; %bb.35:
	flat_load_dwordx2 v[16:17], v[20:21] offset:560
	s_waitcnt vmcnt(0) lgkmcnt(0)
	s_waitcnt_vscnt null, 0x0
	flat_store_dwordx2 v[16:17], v[48:49]
.LBB6_36:
	s_or_b32 exec_lo, exec_lo, s5
	v_and_b32_e32 v18, 4, v87
	v_add_co_u32 v14, vcc_lo, 0x1f8, v20
	v_mov_b32_e32 v4, 0
	v_add_co_ci_u32_e64 v15, null, 0, v21, vcc_lo
	v_mov_b32_e32 v5, 0
	v_cmp_ne_u32_e32 vcc_lo, 0, v18
                                        ; implicit-def: $vgpr96
                                        ; implicit-def: $vgpr22_vgpr23
                                        ; implicit-def: $vgpr18_vgpr19
	s_and_saveexec_b32 s5, vcc_lo
	s_cbranch_execz .LBB6_40
; %bb.37:
	v_and_b32_e32 v4, 0x800, v87
	s_mov_b32 s6, exec_lo
	v_cmpx_eq_u32_e32 0, v4
	s_cbranch_execz .LBB6_39
; %bb.38:
	s_trap 2
	ds_write_b64 v0, v[14:15]
.LBB6_39:
	s_or_b32 exec_lo, exec_lo, s6
	flat_load_dwordx2 v[16:17], v[20:21] offset:552
	s_waitcnt vmcnt(0) lgkmcnt(0)
	flat_load_dwordx2 v[22:23], v[16:17] glc dlc
	s_clause 0x2
	flat_load_dwordx2 v[4:5], v[20:21] offset:600
	flat_load_dword v96, v[20:21] offset:576
	flat_load_dwordx2 v[18:19], v[20:21] offset:520
	v_or_b32_e32 v20, 0x100, v87
	s_waitcnt vmcnt(2) lgkmcnt(2)
	v_cmp_eq_u64_e32 vcc_lo, 0, v[4:5]
	v_cndmask_b32_e32 v87, v20, v87, vcc_lo
.LBB6_40:
	s_or_b32 exec_lo, exec_lo, s5
.LBB6_41:
	s_or_b32 exec_lo, exec_lo, s4
	v_and_b32_e32 v20, 24, v87
	v_ashrrev_i32_e32 v53, 31, v53
	v_cmp_ne_u32_e32 vcc_lo, 0, v20
                                        ; implicit-def: $vgpr20_vgpr21
	s_and_saveexec_b32 s4, vcc_lo
	s_cbranch_execz .LBB6_49
; %bb.42:
	s_trap 2
	ds_read_b64 v[4:5], v0
	v_lshlrev_b64 v[6:7], 3, v[6:7]
	v_or_b32_e32 v20, 0x100, v87
	s_waitcnt lgkmcnt(0)
	v_add_co_u32 v4, vcc_lo, v4, v6
	v_add_co_ci_u32_e64 v5, null, v5, v7, vcc_lo
	flat_load_dwordx2 v[14:15], v[4:5]
	s_waitcnt vmcnt(0) lgkmcnt(0)
	flat_load_dwordx4 v[4:7], v[14:15] offset:96
	s_waitcnt vmcnt(0) lgkmcnt(0)
	v_cmp_eq_u64_e32 vcc_lo, 0, v[4:5]
	v_cndmask_b32_e32 v87, v20, v87, vcc_lo
	v_and_b32_e32 v20, 16, v87
	v_cmp_ne_u32_e32 vcc_lo, 0, v20
                                        ; implicit-def: $vgpr20_vgpr21
	s_and_saveexec_b32 s5, vcc_lo
	s_cbranch_execz .LBB6_44
; %bb.43:
	s_clause 0x2
	flat_load_dwordx2 v[16:17], v[14:15] offset:48
	flat_load_dwordx2 v[20:21], v[14:15] offset:120
	;; [unrolled: 1-line block ×3, first 2 shown]
.LBB6_44:
	s_or_b32 exec_lo, exec_lo, s5
	v_add_co_u32 v6, vcc_lo, v6, 3
	v_and_b32_e32 v25, 8, v87
	v_add_co_ci_u32_e64 v49, null, 0, v7, vcc_lo
	v_and_b32_e32 v48, -4, v6
	s_mov_b32 s5, exec_lo
	v_cmpx_ne_u32_e32 0, v25
	s_cbranch_execz .LBB6_48
; %bb.45:
	v_and_b32_e32 v6, 0x800, v87
	s_mov_b32 s6, exec_lo
	v_cmpx_eq_u32_e32 0, v6
	s_cbranch_execz .LBB6_47
; %bb.46:
	s_trap 2
	ds_write_b64 v0, v[14:15]
.LBB6_47:
	s_or_b32 exec_lo, exec_lo, s6
	s_waitcnt vmcnt(2) lgkmcnt(2)
	flat_load_dwordx2 v[16:17], v[14:15] offset:56
	s_waitcnt vmcnt(0) lgkmcnt(0)
	flat_load_dwordx2 v[22:23], v[16:17] glc dlc
	s_clause 0x1
	flat_load_dword v96, v[14:15] offset:72
	flat_load_dwordx2 v[18:19], v[14:15] offset:16
.LBB6_48:
	s_or_b32 exec_lo, exec_lo, s5
.LBB6_49:
	s_or_b32 exec_lo, exec_lo, s4
	v_cmp_eq_u32_e64 s4, 0, v0
	s_and_saveexec_b32 s5, s4
	s_cbranch_execz .LBB6_51
; %bb.50:
	s_waitcnt vmcnt(1)
	v_mov_b32_e32 v6, v10
	v_mov_b32_e32 v10, 0
	;; [unrolled: 1-line block ×4, first 2 shown]
	ds_write2_b64 v0, v[6:7], v[8:9] offset1:1
	s_trap 2
	ds_write_b64 v0, v[10:11]
.LBB6_51:
	s_or_b32 exec_lo, exec_lo, s5
	s_waitcnt vmcnt(1)
	v_mov_b32_e32 v10, 0
	v_mov_b32_e32 v11, 0
	v_cmp_ne_u32_e64 s5, 32, v1
	s_cmp_lt_i32 s18, -1
	s_mov_b32 s20, -1
	s_cbranch_scc1 .LBB6_615
; %bb.52:
	v_mul_lo_u32 v6, v26, v32
	v_ashrrev_i32_e32 v11, 31, v0
	s_abs_i32 s21, s18
	s_ashr_i32 s11, s10, 31
	v_cvt_f32_u32_e32 v55, s21
	v_mov_b32_e32 v26, 0
	v_lshrrev_b32_e32 v11, 27, v11
	v_lshrrev_b32_e32 v97, 5, v1
	v_sub_nc_u32_e32 v8, v33, v6
	v_mad_u64_u32 v[6:7], null, v38, v34, 0
	v_mul_lo_u32 v7, v29, v32
	v_add_nc_u32_e32 v11, v0, v11
	v_sub_nc_u32_e32 v9, v8, v32
	v_cmp_ge_u32_e32 vcc_lo, v8, v32
	s_lshr_b32 s6, s18, 31
	s_lshr_b32 s11, s11, 25
	v_sub_co_u32 v6, null, v27, v6
	v_cndmask_b32_e32 v8, v8, v9, vcc_lo
	v_add_nc_u32_e32 v9, 1, v29
	s_sub_i32 s16, 0, s21
	s_add_i32 s6, s18, s6
	s_add_i32 s10, s10, s11
	v_sub_nc_u32_e32 v10, v8, v32
	v_cmp_ge_u32_e32 vcc_lo, v8, v32
	v_cmp_ge_i32_e64 s14, v0, v1
	s_waitcnt lgkmcnt(1)
	v_cmp_eq_u64_e64 s12, 0, v[20:21]
	v_cmp_ne_u64_e64 s13, 0, v[20:21]
	v_and_b32_e32 v24, 0x3ffffe00, v24
	v_cndmask_b32_e32 v8, v8, v10, vcc_lo
	v_sub_nc_u32_e32 v10, v37, v7
	s_ashr_i32 s22, s6, 1
	v_mov_b32_e32 v25, v26
	v_lshlrev_b32_e32 v98, 12, v97
	v_xor_b32_e32 v7, v8, v35
	v_cmp_ge_u32_e32 vcc_lo, v10, v32
	v_lshlrev_b32_e32 v102, 9, v97
	v_lshlrev_b32_e32 v103, 10, v97
	v_and_b32_e32 v112, 0x1fe0, v1
	v_sub_nc_u32_e32 v7, v7, v35
	v_cndmask_b32_e32 v28, v29, v9, vcc_lo
	v_sub_nc_u32_e32 v29, v10, v32
	s_ashr_i32 s23, s10, 7
	v_ashrrev_i32_e32 v113, 31, v96
	v_mad_u64_u32 v[8:9], null, v36, v32, v[7:8]
	v_cndmask_b32_e32 v9, v10, v29, vcc_lo
	v_add_nc_u32_e32 v10, 1, v28
	v_ashrrev_i32_e32 v7, 31, v6
	v_cmp_eq_u32_e64 s10, 32, v1
	s_waitcnt vmcnt(0)
	v_cmp_ne_u32_sdwa s24, v1, v86 src0_sel:DWORD src1_sel:WORD_0
	v_cmp_ge_u32_e32 vcc_lo, v9, v32
	v_mov_b32_e32 v116, 1
	v_mov_b32_e32 v117, 0x88
	s_mov_b32 s17, 0
	s_xor_b32 s26, s14, -1
	v_cndmask_b32_e32 v9, v28, v10, vcc_lo
	v_cmp_lt_i32_e32 vcc_lo, v8, v6
	v_ashrrev_i32_e32 v28, 5, v11
	v_and_b32_e32 v11, 0xffffffe0, v11
	s_trap 2
	v_xor_b32_e32 v9, v9, v53
	v_cndmask_b32_e64 v10, 0, 1, vcc_lo
	v_sub_nc_u32_e32 v99, v0, v11
	v_sub_nc_u32_e32 v64, v9, v53
	v_add_co_u32 v27, vcc_lo, v38, v10
	v_add_co_ci_u32_e64 v29, null, 0, v39, vcc_lo
	v_min_i32_e32 v10, v8, v6
	v_mul_lo_u32 v35, v27, v51
	v_mad_u64_u32 v[32:33], null, v27, v50, 0
	v_mul_lo_u32 v34, v29, v50
	v_ashrrev_i32_e32 v9, 31, v8
	v_ashrrev_i32_e32 v11, 31, v10
	;; [unrolled: 1-line block ×3, first 2 shown]
	v_mul_lo_u32 v39, v39, v8
	v_ashrrev_i32_e32 v29, 31, v28
	v_mul_lo_u32 v65, v38, v9
	v_mad_u64_u32 v[10:11], null, v38, v8, v[10:11]
	v_add3_u32 v33, v33, v35, v34
	v_mul_lo_u32 v27, v32, v27
	v_mad_u64_u32 v[36:37], null, v32, v64, 0
	v_lshlrev_b32_e32 v34, 4, v99
	v_mul_lo_u32 v53, v33, v64
	v_add3_u32 v11, v39, v11, v65
	v_lshrrev_b32_e32 v66, 31, v33
	v_mul_lo_u32 v54, v10, v51
	v_lshl_add_u32 v100, v28, 12, v34
	v_mad_u64_u32 v[34:35], null, v10, v50, 0
	v_mul_lo_u32 v67, v11, v50
	v_add3_u32 v27, v37, v27, v53
	v_add_co_u32 v10, vcc_lo, v32, v66
	v_add_co_ci_u32_e64 v11, null, 0, v33, vcc_lo
	v_lshrrev_b32_e32 v37, 31, v27
	v_cmp_lt_i64_e64 s7, v[8:9], v[6:7]
	v_add3_u32 v35, v35, v54, v67
	v_ashrrev_i64 v[53:54], 1, v[10:11]
	v_cmp_gt_i32_e64 s6, 1, v99
	v_add_co_u32 v10, vcc_lo, v36, v37
	v_add_co_ci_u32_e64 v11, null, 0, v27, vcc_lo
	v_cndmask_b32_e64 v7, v7, v9, s7
	v_cndmask_b32_e64 v6, v6, v8, s7
	v_sub_co_u32 v27, vcc_lo, v32, v53
	v_ashrrev_i64 v[36:37], 1, v[10:11]
	v_rcp_iflag_f32_e32 v10, v55
	v_mad_u64_u32 v[6:7], null, v38, v8, v[6:7]
	v_sub_co_ci_u32_e64 v66, null, v33, v54, vcc_lo
	v_cmp_eq_u32_e32 vcc_lo, 0, v64
	v_and_b32_e32 v9, 31, v31
	v_ashrrev_i32_e32 v101, 31, v100
	v_cmp_lt_i32_e64 s11, v99, v52
	v_add3_u32 v7, v39, v7, v65
	v_mul_f32_e32 v8, 0x4f7ffffe, v10
	v_mad_u64_u32 v[38:39], null, v6, v50, 0
	v_mov_b32_e32 v10, 0
	v_mul_lo_u32 v7, v7, v50
	v_cvt_u32_f32_e32 v8, v8
	v_cmp_eq_u32_e64 s7, 0, v9
	v_mov_b32_e32 v11, 0
	v_cndmask_b32_e32 v114, v66, v54, vcc_lo
	v_cndmask_b32_e32 v115, v27, v53, vcc_lo
	v_readfirstlane_b32 s15, v8
	v_mul_lo_u32 v8, v6, v51
	s_mul_i32 s16, s16, s15
	s_mul_hi_u32 s16, s15, s16
	v_add3_u32 v39, v39, v8, v7
	s_add_i32 s25, s15, s16
	s_mov_b32 s16, s17
.LBB6_53:                               ; =>This Loop Header: Depth=1
                                        ;     Child Loop BB6_62 Depth 2
                                        ;     Child Loop BB6_69 Depth 2
	;; [unrolled: 1-line block ×5, first 2 shown]
                                        ;       Child Loop BB6_93 Depth 3
                                        ;         Child Loop BB6_101 Depth 4
                                        ;         Child Loop BB6_125 Depth 4
	;; [unrolled: 1-line block ×8, first 2 shown]
                                        ;       Child Loop BB6_214 Depth 3
                                        ;         Child Loop BB6_220 Depth 4
                                        ;         Child Loop BB6_244 Depth 4
                                        ;       Child Loop BB6_265 Depth 3
                                        ;         Child Loop BB6_268 Depth 4
                                        ;           Child Loop BB6_276 Depth 5
                                        ;           Child Loop BB6_304 Depth 5
	;; [unrolled: 1-line block ×8, first 2 shown]
                                        ;         Child Loop BB6_393 Depth 4
                                        ;           Child Loop BB6_399 Depth 5
                                        ;           Child Loop BB6_427 Depth 5
                                        ;       Child Loop BB6_447 Depth 3
                                        ;         Child Loop BB6_455 Depth 4
                                        ;         Child Loop BB6_479 Depth 4
                                        ;         Child Loop BB6_498 Depth 4
                                        ;         Child Loop BB6_520 Depth 4
                                        ;         Child Loop BB6_525 Depth 4
                                        ;         Child Loop BB6_533 Depth 4
                                        ;         Child Loop BB6_538 Depth 4
                                        ;         Child Loop BB6_547 Depth 4
                                        ;       Child Loop BB6_566 Depth 3
                                        ;         Child Loop BB6_572 Depth 4
                                        ;         Child Loop BB6_596 Depth 4
	s_sub_i32 s14, s18, s16
	s_trap 2
	s_abs_i32 s15, s14
	ds_read_b64 v[6:7], v0
	s_mul_hi_u32 s27, s15, s25
	s_ashr_i32 s14, s14, 31
	s_mul_i32 s27, s27, s21
	s_sub_i32 s15, s15, s27
	s_sub_i32 s27, s15, s21
	s_cmp_ge_u32 s15, s21
	s_cselect_b32 s15, s27, s15
	s_sub_i32 s27, s15, s21
	s_cmp_ge_u32 s15, s21
	s_cselect_b32 s15, s27, s15
	s_lshl_b64 s[28:29], s[16:17], 2
	s_xor_b32 s15, s15, s14
	s_sub_i32 s14, s15, s14
	s_waitcnt lgkmcnt(0)
	v_add_co_u32 v8, vcc_lo, v6, s28
	s_ashr_i32 s15, s14, 31
	v_add_co_ci_u32_e64 v9, null, s29, v7, vcc_lo
	s_lshl_b64 s[14:15], s[14:15], 2
	s_cmp_lg_u32 s16, 0
	v_add_co_u32 v6, vcc_lo, v6, s14
	v_add_co_ci_u32_e64 v7, null, s15, v7, vcc_lo
	s_clause 0x1
	flat_load_dword v8, v[8:9]
	flat_load_dword v6, v[6:7]
	s_cselect_b32 s14, -1, 0
	s_waitcnt vmcnt(1) lgkmcnt(1)
	v_ashrrev_i32_e32 v7, 31, v8
	v_mul_lo_u32 v9, v85, v8
	v_mad_u64_u32 v[54:55], null, v30, v8, 0
	s_waitcnt vmcnt(0) lgkmcnt(0)
	v_cmp_eq_u32_e32 vcc_lo, v6, v8
	v_ashrrev_i32_e32 v8, 31, v6
	v_mul_lo_u32 v64, v85, v6
	v_mad_u64_u32 v[52:53], null, v30, v6, 0
	v_mul_lo_u32 v6, v30, v7
	v_mul_lo_u32 v7, v30, v8
	v_cndmask_b32_e32 v27, 0, v37, vcc_lo
	v_cndmask_b32_e32 v42, 0, v36, vcc_lo
	;; [unrolled: 1-line block ×4, first 2 shown]
	v_add3_u32 v55, v55, v6, v9
	v_add3_u32 v53, v53, v7, v64
	v_add_co_u32 v6, vcc_lo, v54, v34
	v_add_co_ci_u32_e64 v7, null, v55, v35, vcc_lo
	v_add_co_u32 v8, vcc_lo, v52, v34
	v_add_co_ci_u32_e64 v9, null, v53, v35, vcc_lo
	v_add_co_u32 v118, vcc_lo, v6, v42
	v_add_co_ci_u32_e64 v119, null, v7, v27, vcc_lo
	v_add_co_u32 v40, vcc_lo, v8, v42
	v_add_co_ci_u32_e64 v41, null, v9, v27, vcc_lo
	s_and_b32 vcc_lo, exec_lo, s14
	s_cbranch_vccz .LBB6_55
; %bb.54:                               ;   in Loop: Header=BB6_53 Depth=1
	s_and_saveexec_b32 s27, s14
	s_cbranch_execnz .LBB6_85
	s_branch .LBB6_613
.LBB6_55:                               ;   in Loop: Header=BB6_53 Depth=1
	flat_load_dwordx4 v[6:9], v[2:3] offset:16
	s_mov_b32 s14, -1
	s_mov_b32 s15, exec_lo
	s_waitcnt vmcnt(0) lgkmcnt(0)
	v_cmpx_ne_u64_e64 v[8:9], v[6:7]
	s_cbranch_execz .LBB6_84
; %bb.56:                               ;   in Loop: Header=BB6_53 Depth=1
	s_mov_b32 s27, 0
	s_and_saveexec_b32 s14, s6
; %bb.57:                               ;   in Loop: Header=BB6_53 Depth=1
	v_add_nc_u32_e32 v64, v8, v118
	v_add_nc_u32_e32 v65, v6, v40
	v_or_b32_e32 v64, v64, v65
	v_and_b32_e32 v64, 15, v64
	v_cmp_ne_u32_e32 vcc_lo, 0, v64
	s_and_b32 s27, vcc_lo, exec_lo
; %bb.58:                               ;   in Loop: Header=BB6_53 Depth=1
	s_or_b32 exec_lo, exec_lo, s14
	v_cndmask_b32_e64 v64, 0, 1, s27
	v_cmp_ne_u32_e32 vcc_lo, 0, v64
	s_cbranch_vccz .LBB6_60
; %bb.59:                               ;   in Loop: Header=BB6_53 Depth=1
	v_mov_b32_e32 v64, 0
	v_mov_b32_e32 v67, v51
	;; [unrolled: 1-line block ×8, first 2 shown]
	s_mov_b32 s14, -1
	s_and_saveexec_b32 s27, s14
	s_cbranch_execnz .LBB6_75
	s_branch .LBB6_83
.LBB6_60:                               ;   in Loop: Header=BB6_53 Depth=1
	v_ashrrev_i32_e32 v64, 31, v51
	s_mov_b32 s27, exec_lo
	v_lshrrev_b32_e32 v64, 20, v64
	v_add_co_u32 v64, vcc_lo, v50, v64
	v_add_co_ci_u32_e64 v65, null, 0, v51, vcc_lo
	v_ashrrev_i64 v[64:65], 12, v[64:65]
	v_sub_co_u32 v68, vcc_lo, v64, v28
	v_sub_co_ci_u32_e64 v69, null, v65, v29, vcc_lo
	v_cmpx_lt_i64_e32 0, v[68:69]
	s_cbranch_execz .LBB6_64
; %bb.61:                               ;   in Loop: Header=BB6_53 Depth=1
	v_add_co_u32 v66, vcc_lo, v38, v42
	v_add_co_ci_u32_e64 v67, null, v39, v27, vcc_lo
	s_mov_b32 s28, 0
	v_add_co_u32 v70, vcc_lo, v66, v8
	v_add_co_ci_u32_e64 v71, null, v67, v9, vcc_lo
	v_add_co_u32 v80, vcc_lo, v66, v6
	v_add_co_ci_u32_e64 v81, null, v67, v7, vcc_lo
	;; [unrolled: 2-line block ×4, first 2 shown]
.LBB6_62:                               ;   Parent Loop BB6_53 Depth=1
                                        ; =>  This Inner Loop Header: Depth=2
	v_add_co_u32 v60, vcc_lo, v100, v66
	v_add_co_ci_u32_e64 v61, null, v101, v67, vcc_lo
	v_add_co_u32 v92, vcc_lo, 0x800, v60
	v_add_co_ci_u32_e64 v93, null, 0, v61, vcc_lo
	s_clause 0x3
	global_load_dwordx4 v[80:83], v[60:61], off slc
	global_load_dwordx4 v[43:46], v[60:61], off offset:512 slc
	global_load_dwordx4 v[56:59], v[60:61], off offset:1024 slc
	global_load_dwordx4 v[60:63], v[60:61], off offset:1536 slc
	s_clause 0x3
	global_load_dwordx4 v[72:75], v[92:93], off slc
	global_load_dwordx4 v[76:79], v[92:93], off offset:512 slc
	global_load_dwordx4 v[88:91], v[92:93], off offset:1024 slc
	;; [unrolled: 1-line block ×3, first 2 shown]
	v_add_co_u32 v104, vcc_lo, v100, v70
	v_add_co_ci_u32_e64 v105, null, v101, v71, vcc_lo
	v_sub_co_u32 v68, vcc_lo, v68, v97
	v_subrev_co_ci_u32_e64 v69, null, 0, v69, vcc_lo
	v_add_co_u32 v66, vcc_lo, v66, v98
	v_add_co_ci_u32_e64 v67, null, 0, v67, vcc_lo
	v_add_co_u32 v70, vcc_lo, v70, v98
	v_add_co_ci_u32_e64 v71, null, 0, v71, vcc_lo
	v_cmp_gt_i64_e32 vcc_lo, 1, v[68:69]
	v_add_co_u32 v106, s14, 0x800, v104
	v_add_co_ci_u32_e64 v107, null, 0, v105, s14
	s_waitcnt vmcnt(7)
	global_store_dwordx4 v[104:105], v[80:83], off glc slc
	s_waitcnt vmcnt(6)
	global_store_dwordx4 v[104:105], v[43:46], off offset:512 glc slc
	s_waitcnt vmcnt(5)
	global_store_dwordx4 v[104:105], v[56:59], off offset:1024 glc slc
	;; [unrolled: 2-line block ×3, first 2 shown]
	s_waitcnt vmcnt(3)
	global_store_dwordx4 v[106:107], v[72:75], off glc slc
	s_waitcnt vmcnt(2)
	global_store_dwordx4 v[106:107], v[76:79], off offset:512 glc slc
	s_waitcnt vmcnt(1)
	global_store_dwordx4 v[106:107], v[88:91], off offset:1024 glc slc
	;; [unrolled: 2-line block ×3, first 2 shown]
	s_or_b32 s28, vcc_lo, s28
	s_andn2_b32 exec_lo, exec_lo, s28
	s_cbranch_execnz .LBB6_62
; %bb.63:                               ;   in Loop: Header=BB6_53 Depth=1
	s_or_b32 exec_lo, exec_lo, s28
.LBB6_64:                               ;   in Loop: Header=BB6_53 Depth=1
	s_or_b32 exec_lo, exec_lo, s27
	v_lshlrev_b64 v[69:70], 12, v[64:65]
	v_mov_b32_e32 v64, 0
	v_mov_b32_e32 v65, 0
	s_mov_b32 s14, 0
	s_mov_b32 s27, exec_lo
                                        ; implicit-def: $vgpr66_vgpr67
                                        ; implicit-def: $vgpr43
                                        ; implicit-def: $vgpr80
                                        ; implicit-def: $vgpr83_vgpr84
	v_cmpx_ne_u64_e64 v[50:51], v[69:70]
	s_cbranch_execz .LBB6_74
; %bb.65:                               ;   in Loop: Header=BB6_53 Depth=1
	v_sub_co_u32 v71, vcc_lo, v50, v69
	v_sub_co_ci_u32_e64 v80, null, v51, v70, vcc_lo
	v_ashrrev_i32_e32 v64, 31, v80
	v_lshrrev_b32_e32 v64, 23, v64
	v_add_co_u32 v64, vcc_lo, v71, v64
	v_add_co_ci_u32_e64 v65, null, 0, v80, vcc_lo
	v_and_b32_e32 v83, 0xfffffe00, v64
	v_ashrrev_i64 v[81:82], 9, v[64:65]
	v_sub_co_u32 v66, vcc_lo, v71, v83
	v_add_co_u32 v64, s14, v83, v69
	v_sub_co_ci_u32_e64 v67, null, v80, v65, vcc_lo
	v_add_co_ci_u32_e64 v65, null, v65, v70, s14
	s_mov_b32 s14, exec_lo
	v_cmpx_lt_i64_e32 15, v[66:67]
	s_cbranch_execz .LBB6_67
; %bb.66:                               ;   in Loop: Header=BB6_53 Depth=1
	v_and_b32_e32 v83, 15, v50
	v_add_co_u32 v81, vcc_lo, v81, 1
	v_add_co_ci_u32_e64 v82, null, 0, v82, vcc_lo
	v_sub_co_u32 v66, vcc_lo, v66, v83
	v_subrev_co_ci_u32_e64 v67, null, 0, v67, vcc_lo
	v_mov_b32_e32 v84, v26
	v_add_co_u32 v64, vcc_lo, v66, v64
	v_add_co_ci_u32_e64 v65, null, v67, v65, vcc_lo
	v_mov_b32_e32 v66, v83
	v_mov_b32_e32 v67, v84
.LBB6_67:                               ;   in Loop: Header=BB6_53 Depth=1
	s_or_b32 exec_lo, exec_lo, s14
	v_lshlrev_b32_e32 v68, 5, v68
	s_mov_b32 s28, exec_lo
	v_sub_nc_u32_e32 v68, v99, v68
	v_ashrrev_i32_e32 v83, 31, v68
	v_lshrrev_b32_e32 v83, 27, v83
	v_add_nc_u32_e32 v83, v68, v83
	v_and_b32_e32 v84, 0xffffffe0, v83
	v_ashrrev_i32_e32 v45, 5, v83
	v_sub_nc_u32_e32 v68, v68, v84
	v_sub_co_u32 v81, s14, v81, v45
	v_lshlrev_b32_e32 v83, 4, v68
	v_lshl_add_u32 v43, v45, 9, v83
	v_ashrrev_i32_e32 v44, 31, v43
	v_sub_co_u32 v83, vcc_lo, v71, v43
	v_ashrrev_i32_e32 v71, 31, v45
	v_sub_co_ci_u32_e64 v84, null, v80, v44, vcc_lo
	v_sub_co_ci_u32_e64 v82, null, v82, v71, s14
	v_cmpx_lt_i64_e32 15, v[83:84]
	s_cbranch_execz .LBB6_71
; %bb.68:                               ;   in Loop: Header=BB6_53 Depth=1
	v_add_co_u32 v71, vcc_lo, v34, v42
	v_add_co_ci_u32_e64 v80, null, v35, v27, vcc_lo
	s_mov_b32 s29, 0
	v_add_co_u32 v71, vcc_lo, v71, v69
	v_add_co_ci_u32_e64 v80, null, v80, v70, vcc_lo
	v_add_co_u32 v69, vcc_lo, v8, v54
	v_add_co_ci_u32_e64 v70, null, v9, v55, vcc_lo
	;; [unrolled: 2-line block ×4, first 2 shown]
	.p2align	6
.LBB6_69:                               ;   Parent Loop BB6_53 Depth=1
                                        ; =>  This Inner Loop Header: Depth=2
	v_add_co_u32 v45, vcc_lo, v69, v71
	v_add_co_ci_u32_e64 v46, null, v70, v80, vcc_lo
	global_load_dwordx4 v[56:59], v[45:46], off slc
	v_add_co_u32 v45, vcc_lo, v43, v71
	v_add_co_ci_u32_e64 v46, null, v44, v80, vcc_lo
	v_sub_co_u32 v83, vcc_lo, v83, v102
	v_subrev_co_ci_u32_e64 v84, null, 0, v84, vcc_lo
	v_sub_co_u32 v81, vcc_lo, v81, v97
	v_subrev_co_ci_u32_e64 v82, null, 0, v82, vcc_lo
	v_cmp_gt_i64_e32 vcc_lo, 16, v[83:84]
	v_add_co_u32 v71, s14, v71, v102
	v_add_co_ci_u32_e64 v80, null, 0, v80, s14
	s_or_b32 s29, vcc_lo, s29
	s_waitcnt vmcnt(0)
	global_store_dwordx4 v[45:46], v[56:59], off glc slc
	s_andn2_b32 exec_lo, exec_lo, s29
	s_cbranch_execnz .LBB6_69
; %bb.70:                               ;   in Loop: Header=BB6_53 Depth=1
	s_or_b32 exec_lo, exec_lo, s29
.LBB6_71:                               ;   in Loop: Header=BB6_53 Depth=1
	s_or_b32 exec_lo, exec_lo, s28
	s_mov_b32 s14, 0
	s_mov_b32 s28, exec_lo
                                        ; implicit-def: $vgpr43
                                        ; implicit-def: $vgpr80
                                        ; implicit-def: $vgpr83_vgpr84
	v_cmpx_ne_u64_e32 0, v[66:67]
	s_cbranch_execz .LBB6_73
; %bb.72:                               ;   in Loop: Header=BB6_53 Depth=1
	v_cmp_lt_i64_e32 vcc_lo, 0, v[81:82]
	s_mov_b32 s14, exec_lo
	v_cndmask_b32_e32 v69, 0, v97, vcc_lo
	v_sub_nc_u32_e32 v69, v69, v81
	v_lshl_add_u32 v43, v69, 5, v68
	v_ashrrev_i32_e32 v68, 31, v43
	v_lshrrev_b32_e32 v68, 27, v68
	v_add_nc_u32_e32 v68, v43, v68
	v_ashrrev_i32_e32 v80, 5, v68
	v_ashrrev_i32_e32 v81, 31, v80
	v_mov_b32_e32 v84, v81
	v_mov_b32_e32 v83, v80
.LBB6_73:                               ;   in Loop: Header=BB6_53 Depth=1
	s_or_b32 exec_lo, exec_lo, s28
	s_and_b32 s14, s14, exec_lo
.LBB6_74:                               ;   in Loop: Header=BB6_53 Depth=1
	s_or_b32 exec_lo, exec_lo, s27
	s_and_saveexec_b32 s27, s14
	s_cbranch_execz .LBB6_83
.LBB6_75:                               ;   in Loop: Header=BB6_53 Depth=1
	v_ashrrev_i32_e32 v68, 31, v67
	v_ashrrev_i32_e32 v81, 31, v43
	s_mov_b32 s14, exec_lo
	v_lshrrev_b32_e32 v68, 22, v68
	v_lshrrev_b32_e32 v81, 27, v81
	v_add_co_u32 v68, vcc_lo, v66, v68
	v_add_co_ci_u32_e64 v69, null, 0, v67, vcc_lo
	v_ashrrev_i64 v[70:71], 10, v[68:69]
	v_sub_co_u32 v68, vcc_lo, v70, v83
	v_sub_co_ci_u32_e64 v69, null, v71, v84, vcc_lo
	v_cmpx_lt_i64_e32 0, v[68:69]
	s_cbranch_execz .LBB6_79
; %bb.76:                               ;   in Loop: Header=BB6_53 Depth=1
	v_add_nc_u32_e32 v82, v43, v81
	v_add_co_u32 v83, vcc_lo, v34, v42
	v_add_co_ci_u32_e64 v84, null, v35, v27, vcc_lo
	v_and_b32_e32 v82, 0xffffffe0, v82
	v_add_co_u32 v83, vcc_lo, v83, v64
	v_add_co_ci_u32_e64 v84, null, v84, v65, vcc_lo
	v_sub_nc_u32_e32 v82, v43, v82
	v_add_co_u32 v44, vcc_lo, v83, v8
	v_add_co_ci_u32_e64 v45, null, v84, v9, vcc_lo
	v_add_co_u32 v46, vcc_lo, v83, v6
	v_lshl_add_u32 v80, v80, 10, v82
	v_add_co_ci_u32_e64 v47, null, v84, v7, vcc_lo
	v_add_co_u32 v83, vcc_lo, v44, v54
	v_add_co_ci_u32_e64 v84, null, v45, v55, vcc_lo
	v_add_co_u32 v44, vcc_lo, v46, v52
	v_ashrrev_i32_e32 v82, 31, v80
	v_add_co_ci_u32_e64 v45, null, v47, v53, vcc_lo
	s_mov_b32 s28, 0
.LBB6_77:                               ;   Parent Loop BB6_53 Depth=1
                                        ; =>  This Inner Loop Header: Depth=2
	v_add_co_u32 v46, vcc_lo, v80, v83
	v_add_co_ci_u32_e64 v47, null, v82, v84, vcc_lo
	s_clause 0x1f
	flat_load_ubyte v56, v[46:47] slc
	flat_load_ubyte v57, v[46:47] offset:32 slc
	flat_load_ubyte v58, v[46:47] offset:64 slc
	;; [unrolled: 1-line block ×31, first 2 shown]
	v_add_co_u32 v46, vcc_lo, v80, v44
	v_add_co_ci_u32_e64 v47, null, v82, v45, vcc_lo
	v_sub_co_u32 v68, vcc_lo, v68, v97
	v_subrev_co_ci_u32_e64 v69, null, 0, v69, vcc_lo
	v_add_co_u32 v83, vcc_lo, v83, v103
	v_add_co_ci_u32_e64 v84, null, 0, v84, vcc_lo
	v_add_co_u32 v44, vcc_lo, v44, v103
	v_add_co_ci_u32_e64 v45, null, 0, v45, vcc_lo
	v_cmp_gt_i64_e32 vcc_lo, 1, v[68:69]
	s_waitcnt vmcnt(31) lgkmcnt(31)
	flat_store_byte v[46:47], v56 glc slc
	s_waitcnt vmcnt(30) lgkmcnt(31)
	flat_store_byte v[46:47], v57 offset:32 glc slc
	s_waitcnt vmcnt(29) lgkmcnt(31)
	flat_store_byte v[46:47], v58 offset:64 glc slc
	;; [unrolled: 2-line block ×31, first 2 shown]
	s_or_b32 s28, vcc_lo, s28
	s_andn2_b32 exec_lo, exec_lo, s28
	s_cbranch_execnz .LBB6_77
; %bb.78:                               ;   in Loop: Header=BB6_53 Depth=1
	s_or_b32 exec_lo, exec_lo, s28
.LBB6_79:                               ;   in Loop: Header=BB6_53 Depth=1
	s_or_b32 exec_lo, exec_lo, s14
	v_lshlrev_b64 v[69:70], 10, v[70:71]
	v_cmp_ne_u64_e32 vcc_lo, v[66:67], v[69:70]
	s_and_b32 exec_lo, exec_lo, vcc_lo
	s_cbranch_execz .LBB6_83
; %bb.80:                               ;   in Loop: Header=BB6_53 Depth=1
	v_add_nc_u32_e32 v71, v43, v81
	v_lshlrev_b32_e32 v68, 5, v68
	v_and_b32_e32 v71, 0xffffffe0, v71
	v_sub_nc_u32_e32 v71, v43, v71
	v_sub_nc_u32_e32 v68, v71, v68
	v_ashrrev_i32_e32 v71, 31, v68
	v_add_co_u32 v80, vcc_lo, v69, v68
	v_add_co_ci_u32_e64 v81, null, v70, v71, vcc_lo
	v_sub_co_u32 v66, vcc_lo, v66, v80
	v_sub_co_ci_u32_e64 v67, null, v67, v81, vcc_lo
	v_cmp_lt_i64_e32 vcc_lo, 0, v[66:67]
	s_and_b32 exec_lo, exec_lo, vcc_lo
	s_cbranch_execz .LBB6_83
; %bb.81:                               ;   in Loop: Header=BB6_53 Depth=1
	v_add_co_u32 v80, vcc_lo, v34, v42
	v_add_co_ci_u32_e64 v27, null, v35, v27, vcc_lo
	s_mov_b32 s28, 0
	v_add_co_u32 v64, vcc_lo, v80, v64
	v_add_co_ci_u32_e64 v27, null, v27, v65, vcc_lo
	v_add_co_u32 v64, vcc_lo, v64, v69
	v_add_co_ci_u32_e64 v65, null, v27, v70, vcc_lo
	;; [unrolled: 2-line block ×5, first 2 shown]
	.p2align	6
.LBB6_82:                               ;   Parent Loop BB6_53 Depth=1
                                        ; =>  This Inner Loop Header: Depth=2
	v_add_co_u32 v52, vcc_lo, v8, v27
	v_add_co_ci_u32_e64 v53, null, v9, v54, vcc_lo
	v_sub_co_u32 v66, vcc_lo, v66, v112
	v_subrev_co_ci_u32_e64 v67, null, 0, v67, vcc_lo
	flat_load_ubyte v55, v[52:53] slc
	v_add_co_u32 v52, vcc_lo, v6, v27
	v_add_co_ci_u32_e64 v53, null, v7, v54, vcc_lo
	v_cmp_gt_i64_e32 vcc_lo, 1, v[66:67]
	v_add_co_u32 v27, s14, v27, v112
	v_add_co_ci_u32_e64 v54, null, 0, v54, s14
	s_or_b32 s28, vcc_lo, s28
	s_waitcnt vmcnt(0) lgkmcnt(0)
	flat_store_byte v[52:53], v55 glc slc
	s_andn2_b32 exec_lo, exec_lo, s28
	s_cbranch_execnz .LBB6_82
.LBB6_83:                               ;   in Loop: Header=BB6_53 Depth=1
	s_or_b32 exec_lo, exec_lo, s27
	s_xor_b32 s14, exec_lo, -1
.LBB6_84:                               ;   in Loop: Header=BB6_53 Depth=1
	s_or_b32 exec_lo, exec_lo, s15
	s_and_saveexec_b32 s27, s14
	s_cbranch_execz .LBB6_613
.LBB6_85:                               ;   in Loop: Header=BB6_53 Depth=1
	s_mov_b32 s28, exec_lo
	v_cmpx_lt_i64_e32 0, v[50:51]
	s_cbranch_execz .LBB6_612
; %bb.86:                               ;   in Loop: Header=BB6_53 Depth=1
	v_mov_b32_e32 v6, 0
	v_mov_b32_e32 v7, 0
	s_cmp_gt_u32 s16, 1
	s_mov_b32 s29, 0
	s_cselect_b32 s40, -1, 0
	s_branch .LBB6_89
.LBB6_87:                               ;   in Loop: Header=BB6_89 Depth=2
	s_or_b32 exec_lo, exec_lo, s41
.LBB6_88:                               ;   in Loop: Header=BB6_89 Depth=2
	s_or_b32 exec_lo, exec_lo, s15
	v_add_co_u32 v6, vcc_lo, v6, v24
	v_add_co_ci_u32_e64 v7, null, 0, v7, vcc_lo
	v_cmp_ge_i64_e32 vcc_lo, v[6:7], v[50:51]
	s_or_b32 s29, vcc_lo, s29
	s_andn2_b32 exec_lo, exec_lo, s29
	s_cbranch_execz .LBB6_611
.LBB6_89:                               ;   Parent Loop BB6_53 Depth=1
                                        ; =>  This Loop Header: Depth=2
                                        ;       Child Loop BB6_93 Depth 3
                                        ;         Child Loop BB6_101 Depth 4
                                        ;         Child Loop BB6_125 Depth 4
	;; [unrolled: 1-line block ×8, first 2 shown]
                                        ;       Child Loop BB6_214 Depth 3
                                        ;         Child Loop BB6_220 Depth 4
                                        ;         Child Loop BB6_244 Depth 4
                                        ;       Child Loop BB6_265 Depth 3
                                        ;         Child Loop BB6_268 Depth 4
                                        ;           Child Loop BB6_276 Depth 5
                                        ;           Child Loop BB6_304 Depth 5
	;; [unrolled: 1-line block ×8, first 2 shown]
                                        ;         Child Loop BB6_393 Depth 4
                                        ;           Child Loop BB6_399 Depth 5
                                        ;           Child Loop BB6_427 Depth 5
                                        ;       Child Loop BB6_447 Depth 3
                                        ;         Child Loop BB6_455 Depth 4
                                        ;         Child Loop BB6_479 Depth 4
	;; [unrolled: 1-line block ×8, first 2 shown]
                                        ;       Child Loop BB6_566 Depth 3
                                        ;         Child Loop BB6_572 Depth 4
                                        ;         Child Loop BB6_596 Depth 4
	v_sub_co_u32 v8, vcc_lo, v50, v6
	v_sub_co_ci_u32_e64 v9, null, v51, v7, vcc_lo
	v_cmp_lt_i64_e32 vcc_lo, v[24:25], v[8:9]
	v_cndmask_b32_e32 v8, v8, v24, vcc_lo
	v_cndmask_b32_e64 v9, v9, 0, vcc_lo
	v_add_nc_u32_e32 v27, 31, v8
	v_cmp_ne_u64_e32 vcc_lo, 0, v[8:9]
	v_mov_b32_e32 v9, 0
	v_lshrrev_b32_e32 v27, 1, v27
	s_and_b32 s41, s26, vcc_lo
	v_and_b32_e32 v52, 0x3ffffff0, v27
	v_mov_b32_e32 v27, 0
	v_max_i32_e32 v52, s23, v52
	s_and_saveexec_b32 s42, s41
	s_cbranch_execz .LBB6_210
; %bb.90:                               ;   in Loop: Header=BB6_89 Depth=2
	v_mov_b32_e32 v9, 0
	s_mov_b32 s45, 1
	s_mov_b32 s44, -1
	s_mov_b32 s43, 0
	s_branch .LBB6_93
.LBB6_91:                               ;   in Loop: Header=BB6_93 Depth=3
	s_or_b32 exec_lo, exec_lo, s15
	v_add_co_u32 v48, vcc_lo, v48, 2
	v_add_co_ci_u32_e64 v49, null, 0, v49, vcc_lo
	s_waitcnt vmcnt(0) lgkmcnt(0)
	s_waitcnt_vscnt null, 0x0
	flat_store_dwordx2 v[16:17], v[48:49]
.LBB6_92:                               ;   in Loop: Header=BB6_93 Depth=3
	s_or_b32 exec_lo, exec_lo, s14
	v_add_nc_u32_e32 v9, v52, v9
	s_xor_b32 s14, s44, -1
	v_mov_b32_e32 v27, s45
	s_mov_b32 s44, 0
	s_mov_b32 s45, 2
	v_cmp_ge_i32_e32 vcc_lo, v9, v8
	s_or_b32 s14, s14, vcc_lo
	s_and_b32 s14, exec_lo, s14
	s_or_b32 s43, s14, s43
	s_andn2_b32 exec_lo, exec_lo, s43
	s_cbranch_execz .LBB6_209
.LBB6_93:                               ;   Parent Loop BB6_53 Depth=1
                                        ;     Parent Loop BB6_89 Depth=2
                                        ; =>    This Loop Header: Depth=3
                                        ;         Child Loop BB6_101 Depth 4
                                        ;         Child Loop BB6_125 Depth 4
	;; [unrolled: 1-line block ×8, first 2 shown]
	s_and_saveexec_b32 s14, s4
	s_cbranch_execz .LBB6_95
; %bb.94:                               ;   in Loop: Header=BB6_93 Depth=3
	s_trap 2
	ds_read_b64 v[53:54], v0
	s_waitcnt lgkmcnt(0)
	v_add_co_u32 v27, vcc_lo, v53, v118
	v_add_co_ci_u32_e64 v53, null, v54, v119, vcc_lo
	v_ashrrev_i32_e32 v54, 31, v9
	v_add_co_u32 v27, vcc_lo, v27, v6
	v_add_co_ci_u32_e64 v55, null, v53, v7, vcc_lo
	v_add_co_u32 v53, vcc_lo, v27, v9
	v_add_co_ci_u32_e64 v54, null, v55, v54, vcc_lo
	v_mov_b32_e32 v27, v26
	ds_write_b64 v0, v[53:54]
	ds_write_b64 v0, v[26:27]
.LBB6_95:                               ;   in Loop: Header=BB6_93 Depth=3
	s_or_b32 exec_lo, exec_lo, s14
	v_sub_nc_u32_e32 v27, v8, v9
	v_and_b32_e32 v53, 8, v87
	s_mov_b32 s15, exec_lo
	v_min_i32_e32 v52, v52, v27
	v_cmpx_ne_u32_e32 0, v53
	s_cbranch_execz .LBB6_117
; %bb.96:                               ;   in Loop: Header=BB6_93 Depth=3
	s_waitcnt vmcnt(0)
	v_add_co_u32 v64, vcc_lo, v22, 8
	v_add_co_ci_u32_e64 v65, null, 0, v23, vcc_lo
	v_add_co_u32 v54, vcc_lo, v48, 2
	v_add_co_ci_u32_e64 v55, null, 0, v49, vcc_lo
	s_mov_b32 s46, exec_lo
	v_cmpx_lt_u64_e64 v[64:65], v[54:55]
	s_cbranch_execz .LBB6_108
; %bb.97:                               ;   in Loop: Header=BB6_93 Depth=3
	v_and_b32_e32 v22, 64, v87
	s_mov_b32 s47, 0
	s_mov_b32 s59, 0
                                        ; implicit-def: $sgpr56
                                        ; implicit-def: $sgpr57
                                        ; implicit-def: $sgpr58
	v_cmp_eq_u32_e32 vcc_lo, 0, v22
	s_branch .LBB6_101
.LBB6_98:                               ;   in Loop: Header=BB6_101 Depth=4
	s_waitcnt vmcnt(0) lgkmcnt(0)
	v_add_co_u32 v64, s14, v22, 8
	v_add_co_ci_u32_e64 v65, null, 0, v23, s14
	s_or_b32 s62, s62, exec_lo
	v_cmp_ge_u64_e64 s14, v[64:65], v[54:55]
	s_orn2_b32 s61, s14, exec_lo
.LBB6_99:                               ;   in Loop: Header=BB6_101 Depth=4
	s_or_b32 exec_lo, exec_lo, s72
	s_andn2_b32 s14, s58, exec_lo
	s_and_b32 s58, s62, exec_lo
	s_andn2_b32 s57, s57, exec_lo
	s_and_b32 s61, s61, exec_lo
	s_or_b32 s58, s14, s58
	s_or_b32 s57, s57, s61
.LBB6_100:                              ;   in Loop: Header=BB6_101 Depth=4
	s_or_b32 exec_lo, exec_lo, s60
	s_and_b32 s14, exec_lo, s57
	s_or_b32 s47, s14, s47
	s_andn2_b32 s14, s56, exec_lo
	s_and_b32 s56, s58, exec_lo
	s_or_b32 s56, s14, s56
	s_andn2_b32 exec_lo, exec_lo, s47
	s_cbranch_execz .LBB6_105
.LBB6_101:                              ;   Parent Loop BB6_53 Depth=1
                                        ;     Parent Loop BB6_89 Depth=2
                                        ;       Parent Loop BB6_93 Depth=3
                                        ; =>      This Inner Loop Header: Depth=4
	s_sleep 1
	s_waitcnt vmcnt(0) lgkmcnt(0)
	flat_load_dwordx2 v[22:23], v[16:17] glc dlc
	s_or_b32 s58, s58, exec_lo
	s_or_b32 s57, s57, exec_lo
                                        ; implicit-def: $vgpr27
	s_and_saveexec_b32 s60, vcc_lo
	s_cbranch_execz .LBB6_100
; %bb.102:                              ;   in Loop: Header=BB6_101 Depth=4
	s_cmpk_lt_i32 s59, 0x270f
	s_mov_b32 s61, -1
	s_cselect_b32 s63, -1, 0
	s_cmpk_gt_i32 s59, 0x270e
	s_cbranch_scc0 .LBB6_104
; %bb.103:                              ;   in Loop: Header=BB6_101 Depth=4
	s_trap 2
	ds_read_b64 v[64:65], v0
	s_andn2_b32 s59, s63, exec_lo
	s_mov_b32 s62, 0
	s_waitcnt vmcnt(0) lgkmcnt(0)
	s_waitcnt_vscnt null, 0x0
	flat_load_dword v27, v[64:65] glc dlc
	s_waitcnt vmcnt(0) lgkmcnt(0)
	buffer_gl1_inv
	buffer_gl0_inv
	v_cmp_eq_u32_e64 s14, 0, v27
	s_and_b32 s14, s14, exec_lo
	s_or_b32 s63, s59, s14
	s_mov_b32 s59, 0
	s_and_saveexec_b32 s72, s63
	s_cbranch_execz .LBB6_99
	s_branch .LBB6_98
.LBB6_104:                              ;   in Loop: Header=BB6_101 Depth=4
	s_add_i32 s59, s59, 1
	s_mov_b32 s62, -1
                                        ; implicit-def: $vgpr27
	s_and_saveexec_b32 s72, s63
	s_cbranch_execz .LBB6_99
	s_branch .LBB6_98
.LBB6_105:                              ;   in Loop: Header=BB6_93 Depth=3
	s_or_b32 exec_lo, exec_lo, s47
	s_xor_b32 s14, s56, -1
	s_and_saveexec_b32 s47, s14
	s_xor_b32 s14, exec_lo, s47
	s_cbranch_execz .LBB6_107
; %bb.106:                              ;   in Loop: Header=BB6_93 Depth=3
	v_or_b32_e32 v87, 64, v87
	s_waitcnt vmcnt(0) lgkmcnt(0)
	s_waitcnt_vscnt null, 0x0
	ds_write_b32 v0, v27
	s_trap 2
.LBB6_107:                              ;   in Loop: Header=BB6_93 Depth=3
	s_or_b32 exec_lo, exec_lo, s14
.LBB6_108:                              ;   in Loop: Header=BB6_93 Depth=3
	s_or_b32 exec_lo, exec_lo, s46
	v_and_b32_e32 v27, 0x100, v87
	s_mov_b32 s14, -1
	;;#ASMSTART
	s_wakeup
	;;#ASMEND
	v_cmp_ne_u32_e32 vcc_lo, 0, v27
	v_and_b32_e32 v27, 7, v48
                                        ; implicit-def: $vgpr48_vgpr49
	s_and_saveexec_b32 s46, vcc_lo
	s_cbranch_execz .LBB6_112
; %bb.109:                              ;   in Loop: Header=BB6_93 Depth=3
	v_mad_u64_u32 v[64:65], null, v27, 24, v[4:5]
	v_ashrrev_i32_e32 v53, 31, v52
	flat_load_dword v48, v[64:65]
	flat_store_dwordx2 v[64:65], v[52:53] offset:8
	s_waitcnt vmcnt(0) lgkmcnt(1)
	v_cmp_eq_u32_e64 s14, 1, v48
	v_cmp_ne_u32_e32 vcc_lo, 1, v48
                                        ; implicit-def: $vgpr48_vgpr49
	s_and_saveexec_b32 s47, s14
	s_cbranch_execz .LBB6_111
; %bb.110:                              ;   in Loop: Header=BB6_93 Depth=3
	flat_load_dword v48, v[64:65] offset:4 glc dlc
	s_waitcnt vmcnt(0) lgkmcnt(0)
	v_ashrrev_i32_e32 v49, 31, v48
.LBB6_111:                              ;   in Loop: Header=BB6_93 Depth=3
	s_or_b32 exec_lo, exec_lo, s47
	s_orn2_b32 s14, vcc_lo, exec_lo
.LBB6_112:                              ;   in Loop: Header=BB6_93 Depth=3
	s_or_b32 exec_lo, exec_lo, s46
	s_and_saveexec_b32 s46, s14
; %bb.113:                              ;   in Loop: Header=BB6_93 Depth=3
	v_mad_i64_i32 v[48:49], null, v27, v96, 0
; %bb.114:                              ;   in Loop: Header=BB6_93 Depth=3
	s_or_b32 exec_lo, exec_lo, s46
	v_add_co_u32 v48, vcc_lo, v18, v48
	v_and_b32_e32 v27, 0x2000, v87
	v_add_co_ci_u32_e64 v49, null, v19, v49, vcc_lo
	s_mov_b32 s14, exec_lo
	ds_write_b64 v0, v[48:49] offset:784
	v_cmpx_ne_u32_e32 0, v27
	s_cbranch_execz .LBB6_116
; %bb.115:                              ;   in Loop: Header=BB6_93 Depth=3
	ds_read_b64 v[48:49], v0 offset:872
	s_waitcnt lgkmcnt(0)
	v_add_co_u32 v48, vcc_lo, v48, 1
	v_add_co_ci_u32_e64 v49, null, 0, v49, vcc_lo
	ds_write_b64 v0, v[48:49] offset:872
.LBB6_116:                              ;   in Loop: Header=BB6_93 Depth=3
	s_or_b32 exec_lo, exec_lo, s14
	v_mov_b32_e32 v48, v54
	v_mov_b32_e32 v49, v55
.LBB6_117:                              ;   in Loop: Header=BB6_93 Depth=3
	s_or_b32 exec_lo, exec_lo, s15
	s_and_saveexec_b32 s14, s5
	s_cbranch_execz .LBB6_136
; %bb.118:                              ;   in Loop: Header=BB6_93 Depth=3
	s_and_saveexec_b32 s15, s24
	s_xor_b32 s15, exec_lo, s15
	s_cbranch_execz .LBB6_133
; %bb.119:                              ;   in Loop: Header=BB6_93 Depth=3
	s_and_saveexec_b32 s46, s7
	s_cbranch_execz .LBB6_132
; %bb.120:                              ;   in Loop: Header=BB6_93 Depth=3
	s_mov_b32 s56, exec_lo
	s_mov_b32 s47, exec_lo
	v_mbcnt_lo_u32_b32 v27, s56, 0
	s_waitcnt vmcnt(0) lgkmcnt(0)
	s_waitcnt_vscnt null, 0x0
	buffer_gl1_inv
	buffer_gl0_inv
	v_cmpx_eq_u32_e32 0, v27
	s_cbranch_execz .LBB6_122
; %bb.121:                              ;   in Loop: Header=BB6_93 Depth=3
	s_bcnt1_i32_b32 s56, s56
	v_mov_b32_e32 v54, v26
	v_mov_b32_e32 v53, s56
	ds_add_u64 v0, v[53:54]
	s_trap 2
.LBB6_122:                              ;   in Loop: Header=BB6_93 Depth=3
	s_or_b32 exec_lo, exec_lo, s47
	s_trap 2
	ds_read_b64 v[53:54], v0
	s_waitcnt lgkmcnt(0)
	buffer_gl0_inv
	v_add_co_u32 v10, vcc_lo, v10, v97
	v_add_co_ci_u32_e64 v11, null, 0, v11, vcc_lo
	s_mov_b32 s47, exec_lo
	v_cmpx_lt_u64_e64 v[53:54], v[10:11]
	s_cbranch_execz .LBB6_131
; %bb.123:                              ;   in Loop: Header=BB6_93 Depth=3
	s_mov_b32 s56, 0
	s_mov_b32 s59, 0
                                        ; implicit-def: $sgpr57
                                        ; implicit-def: $sgpr58
	s_inst_prefetch 0x1
	s_branch .LBB6_125
	.p2align	6
.LBB6_124:                              ;   in Loop: Header=BB6_125 Depth=4
	s_or_b32 exec_lo, exec_lo, s61
	s_and_b32 s60, exec_lo, s62
	s_or_b32 s56, s60, s56
	s_andn2_b32 s57, s57, exec_lo
	s_and_b32 s60, s58, exec_lo
	s_or_b32 s57, s57, s60
	s_andn2_b32 exec_lo, exec_lo, s56
	s_cbranch_execz .LBB6_129
.LBB6_125:                              ;   Parent Loop BB6_53 Depth=1
                                        ;     Parent Loop BB6_89 Depth=2
                                        ;       Parent Loop BB6_93 Depth=3
                                        ; =>      This Inner Loop Header: Depth=4
	s_add_i32 s59, s59, 1
	s_cmpk_lg_i32 s59, 0x2710
	s_cselect_b32 s60, -1, 0
	s_and_b32 vcc_lo, exec_lo, s60
	s_cbranch_vccz .LBB6_127
; %bb.126:                              ;   in Loop: Header=BB6_125 Depth=4
	s_mov_b32 s62, -1
	s_or_b32 s58, s58, exec_lo
	s_and_saveexec_b32 s61, s60
	s_cbranch_execz .LBB6_124
	s_branch .LBB6_128
	.p2align	6
.LBB6_127:                              ;   in Loop: Header=BB6_125 Depth=4
	s_trap 2
	ds_read_b64 v[53:54], v0
	s_andn2_b32 s60, s60, exec_lo
	s_mov_b32 s59, 0
	s_waitcnt lgkmcnt(0)
	flat_load_dword v27, v[53:54] glc dlc
	s_waitcnt vmcnt(0) lgkmcnt(0)
	buffer_gl1_inv
	buffer_gl0_inv
	v_cmp_eq_u32_e32 vcc_lo, 0, v27
	s_and_b32 s61, vcc_lo, exec_lo
	s_or_b32 s60, s60, s61
	s_mov_b32 s62, -1
	s_or_b32 s58, s58, exec_lo
	s_and_saveexec_b32 s61, s60
	s_cbranch_execz .LBB6_124
.LBB6_128:                              ;   in Loop: Header=BB6_125 Depth=4
	s_sleep 1
	s_trap 2
	ds_read_b64 v[53:54], v0
	s_waitcnt lgkmcnt(0)
	buffer_gl0_inv
	s_andn2_b32 s58, s58, exec_lo
	v_cmp_ge_u64_e32 vcc_lo, v[53:54], v[10:11]
	s_orn2_b32 s62, vcc_lo, exec_lo
	s_branch .LBB6_124
.LBB6_129:                              ;   in Loop: Header=BB6_93 Depth=3
	s_inst_prefetch 0x2
	s_or_b32 exec_lo, exec_lo, s56
	s_and_saveexec_b32 s56, s57
	s_xor_b32 s56, exec_lo, s56
	s_cbranch_execz .LBB6_131
; %bb.130:                              ;   in Loop: Header=BB6_93 Depth=3
	ds_write_b32 v0, v116
	s_trap 2
.LBB6_131:                              ;   in Loop: Header=BB6_93 Depth=3
	s_or_b32 exec_lo, exec_lo, s47
	;;#ASMSTART
	s_wakeup
	;;#ASMEND
.LBB6_132:                              ;   in Loop: Header=BB6_93 Depth=3
	s_or_b32 exec_lo, exec_lo, s46
.LBB6_133:                              ;   in Loop: Header=BB6_93 Depth=3
	s_andn2_saveexec_b32 s15, s15
	s_cbranch_execz .LBB6_135
; %bb.134:                              ;   in Loop: Header=BB6_93 Depth=3
	s_waitcnt vmcnt(0) lgkmcnt(0)
	s_waitcnt_vscnt null, 0x0
	buffer_gl1_inv
	buffer_gl0_inv
	s_barrier
.LBB6_135:                              ;   in Loop: Header=BB6_93 Depth=3
	s_or_b32 exec_lo, exec_lo, s15
.LBB6_136:                              ;   in Loop: Header=BB6_93 Depth=3
	s_or_b32 exec_lo, exec_lo, s14
	s_trap 2
	ds_read_b32 v27, v0
	v_and_b32_e32 v53, 0x4000, v87
	s_xor_b32 s14, s10, -1
	v_cmp_ne_u32_e32 vcc_lo, 0, v53
	s_and_b32 s15, s14, vcc_lo
	s_and_saveexec_b32 s14, s15
	s_cbranch_execz .LBB6_155
; %bb.137:                              ;   in Loop: Header=BB6_93 Depth=3
	s_and_saveexec_b32 s15, s24
	s_xor_b32 s15, exec_lo, s15
	s_cbranch_execz .LBB6_152
; %bb.138:                              ;   in Loop: Header=BB6_93 Depth=3
	s_and_saveexec_b32 s46, s7
	s_cbranch_execz .LBB6_151
; %bb.139:                              ;   in Loop: Header=BB6_93 Depth=3
	s_mov_b32 s56, exec_lo
	s_mov_b32 s47, exec_lo
	v_mbcnt_lo_u32_b32 v53, s56, 0
	s_waitcnt vmcnt(0) lgkmcnt(0)
	s_waitcnt_vscnt null, 0x0
	buffer_gl1_inv
	buffer_gl0_inv
	v_cmpx_eq_u32_e32 0, v53
	s_cbranch_execz .LBB6_141
; %bb.140:                              ;   in Loop: Header=BB6_93 Depth=3
	s_bcnt1_i32_b32 s56, s56
	v_mov_b32_e32 v54, v26
	v_mov_b32_e32 v53, s56
	ds_add_u64 v0, v[53:54]
	s_trap 2
.LBB6_141:                              ;   in Loop: Header=BB6_93 Depth=3
	s_or_b32 exec_lo, exec_lo, s47
	s_trap 2
	ds_read_b64 v[53:54], v0
	s_waitcnt lgkmcnt(0)
	buffer_gl0_inv
	v_add_co_u32 v10, vcc_lo, v10, v97
	v_add_co_ci_u32_e64 v11, null, 0, v11, vcc_lo
	s_mov_b32 s47, exec_lo
	v_cmpx_lt_u64_e64 v[53:54], v[10:11]
	s_cbranch_execz .LBB6_150
; %bb.142:                              ;   in Loop: Header=BB6_93 Depth=3
	s_mov_b32 s56, 0
	s_mov_b32 s59, 0
                                        ; implicit-def: $sgpr57
                                        ; implicit-def: $sgpr58
	s_inst_prefetch 0x1
	s_branch .LBB6_144
	.p2align	6
.LBB6_143:                              ;   in Loop: Header=BB6_144 Depth=4
	s_or_b32 exec_lo, exec_lo, s61
	s_and_b32 s60, exec_lo, s62
	s_or_b32 s56, s60, s56
	s_andn2_b32 s57, s57, exec_lo
	s_and_b32 s60, s58, exec_lo
	s_or_b32 s57, s57, s60
	s_andn2_b32 exec_lo, exec_lo, s56
	s_cbranch_execz .LBB6_148
.LBB6_144:                              ;   Parent Loop BB6_53 Depth=1
                                        ;     Parent Loop BB6_89 Depth=2
                                        ;       Parent Loop BB6_93 Depth=3
                                        ; =>      This Inner Loop Header: Depth=4
	s_add_i32 s59, s59, 1
	s_cmpk_lg_i32 s59, 0x2710
	s_cselect_b32 s60, -1, 0
	s_and_b32 vcc_lo, exec_lo, s60
	s_cbranch_vccz .LBB6_146
; %bb.145:                              ;   in Loop: Header=BB6_144 Depth=4
	s_mov_b32 s62, -1
	s_or_b32 s58, s58, exec_lo
	s_and_saveexec_b32 s61, s60
	s_cbranch_execz .LBB6_143
	s_branch .LBB6_147
	.p2align	6
.LBB6_146:                              ;   in Loop: Header=BB6_144 Depth=4
	s_trap 2
	ds_read_b64 v[53:54], v0
	s_andn2_b32 s60, s60, exec_lo
	s_mov_b32 s59, 0
	s_waitcnt lgkmcnt(0)
	flat_load_dword v53, v[53:54] glc dlc
	s_waitcnt vmcnt(0) lgkmcnt(0)
	buffer_gl1_inv
	buffer_gl0_inv
	v_cmp_eq_u32_e32 vcc_lo, 0, v53
	s_and_b32 s61, vcc_lo, exec_lo
	s_or_b32 s60, s60, s61
	s_mov_b32 s62, -1
	s_or_b32 s58, s58, exec_lo
	s_and_saveexec_b32 s61, s60
	s_cbranch_execz .LBB6_143
.LBB6_147:                              ;   in Loop: Header=BB6_144 Depth=4
	s_sleep 1
	s_trap 2
	ds_read_b64 v[53:54], v0
	s_waitcnt lgkmcnt(0)
	buffer_gl0_inv
	s_andn2_b32 s58, s58, exec_lo
	v_cmp_ge_u64_e32 vcc_lo, v[53:54], v[10:11]
	s_orn2_b32 s62, vcc_lo, exec_lo
	s_branch .LBB6_143
.LBB6_148:                              ;   in Loop: Header=BB6_93 Depth=3
	s_inst_prefetch 0x2
	s_or_b32 exec_lo, exec_lo, s56
	s_and_saveexec_b32 s56, s57
	s_xor_b32 s56, exec_lo, s56
	s_cbranch_execz .LBB6_150
; %bb.149:                              ;   in Loop: Header=BB6_93 Depth=3
	ds_write_b32 v0, v116
	s_trap 2
.LBB6_150:                              ;   in Loop: Header=BB6_93 Depth=3
	s_or_b32 exec_lo, exec_lo, s47
	;;#ASMSTART
	s_wakeup
	;;#ASMEND
.LBB6_151:                              ;   in Loop: Header=BB6_93 Depth=3
	s_or_b32 exec_lo, exec_lo, s46
.LBB6_152:                              ;   in Loop: Header=BB6_93 Depth=3
	s_andn2_saveexec_b32 s15, s15
	s_cbranch_execz .LBB6_154
; %bb.153:                              ;   in Loop: Header=BB6_93 Depth=3
	s_waitcnt vmcnt(0) lgkmcnt(0)
	s_waitcnt_vscnt null, 0x0
	buffer_gl1_inv
	buffer_gl0_inv
	s_barrier
.LBB6_154:                              ;   in Loop: Header=BB6_93 Depth=3
	s_or_b32 exec_lo, exec_lo, s15
.LBB6_155:                              ;   in Loop: Header=BB6_93 Depth=3
	s_or_b32 exec_lo, exec_lo, s14
	s_trap 2
	ds_read_b64 v[53:54], v0
	s_waitcnt lgkmcnt(0)
	v_cmp_eq_u64_e32 vcc_lo, 0, v[53:54]
	s_cbranch_vccnz .LBB6_163
; %bb.156:                              ;   in Loop: Header=BB6_93 Depth=3
	s_trap 2
	ds_read_b64 v[64:65], v0
	s_waitcnt lgkmcnt(0)
	v_cmp_eq_u64_e32 vcc_lo, 0, v[64:65]
	s_cbranch_vccnz .LBB6_163
; %bb.157:                              ;   in Loop: Header=BB6_93 Depth=3
	s_mov_b32 s14, -1
	s_and_saveexec_b32 s15, s6
	s_cbranch_execz .LBB6_159
; %bb.158:                              ;   in Loop: Header=BB6_93 Depth=3
	ds_read_b32 v55, v0 offset:720
	s_waitcnt lgkmcnt(0)
	v_and_b32_e32 v55, 15, v55
	v_cmp_eq_u32_e32 vcc_lo, 0, v55
	s_orn2_b32 s14, vcc_lo, exec_lo
.LBB6_159:                              ;   in Loop: Header=BB6_93 Depth=3
	s_or_b32 exec_lo, exec_lo, s15
	s_and_saveexec_b32 s15, s11
	s_cbranch_execz .LBB6_161
; %bb.160:                              ;   in Loop: Header=BB6_93 Depth=3
	ds_read_b32 v55, v0 offset:784
	s_waitcnt lgkmcnt(0)
	v_and_b32_e32 v55, 15, v55
	v_cmp_eq_u32_e32 vcc_lo, 0, v55
	s_and_b32 s46, s14, vcc_lo
	s_andn2_b32 s14, s14, exec_lo
	s_and_b32 s46, s46, exec_lo
	s_or_b32 s14, s14, s46
.LBB6_161:                              ;   in Loop: Header=BB6_93 Depth=3
	s_or_b32 exec_lo, exec_lo, s15
	v_cmp_eq_u32_e32 vcc_lo, 0, v27
	s_xor_b32 s14, s14, -1
	v_mov_b32_e32 v67, v0
	v_cndmask_b32_e64 v55, 0, 1, s14
	v_mov_b32_e32 v81, v28
	v_cndmask_b32_e32 v27, 0, v52, vcc_lo
	s_mov_b32 s14, -1
	v_cmp_ne_u32_e32 vcc_lo, 0, v55
	v_mov_b32_e32 v55, 0
	v_mov_b32_e32 v66, v27
	s_cbranch_vccz .LBB6_164
; %bb.162:                              ;   in Loop: Header=BB6_93 Depth=3
	s_and_saveexec_b32 s15, s14
	s_cbranch_execnz .LBB6_177
	s_branch .LBB6_185
.LBB6_163:                              ;   in Loop: Header=BB6_93 Depth=3
	s_mov_b32 s14, 0
	s_and_saveexec_b32 s15, s5
	s_cbranch_execnz .LBB6_186
	s_branch .LBB6_204
.LBB6_164:                              ;   in Loop: Header=BB6_93 Depth=3
	v_ashrrev_i32_e32 v55, 31, v27
	s_mov_b32 s15, exec_lo
	v_lshrrev_b32_e32 v55, 20, v55
	v_add_nc_u32_e32 v55, v27, v55
	v_ashrrev_i32_e32 v55, 12, v55
	v_sub_nc_u32_e32 v70, v55, v28
	v_cmpx_lt_i32_e32 0, v70
	s_cbranch_execz .LBB6_168
; %bb.165:                              ;   in Loop: Header=BB6_93 Depth=3
	v_mov_b32_e32 v67, v65
	v_mov_b32_e32 v69, v54
	;; [unrolled: 1-line block ×4, first 2 shown]
	s_mov_b32 s46, 0
.LBB6_166:                              ;   Parent Loop BB6_53 Depth=1
                                        ;     Parent Loop BB6_89 Depth=2
                                        ;       Parent Loop BB6_93 Depth=3
                                        ; =>      This Inner Loop Header: Depth=4
	v_add_co_u32 v46, vcc_lo, v100, v68
	v_add_co_ci_u32_e64 v47, null, v101, v69, vcc_lo
	v_sub_nc_u32_e32 v70, v70, v97
	v_add_co_u32 v92, vcc_lo, 0x800, v46
	v_add_co_ci_u32_e64 v93, null, 0, v47, vcc_lo
	s_clause 0x3
	global_load_dwordx4 v[80:83], v[46:47], off slc
	global_load_dwordx4 v[42:45], v[46:47], off offset:512 slc
	global_load_dwordx4 v[56:59], v[46:47], off offset:1024 slc
	global_load_dwordx4 v[60:63], v[46:47], off offset:1536 slc
	s_clause 0x3
	global_load_dwordx4 v[71:74], v[92:93], off slc
	global_load_dwordx4 v[75:78], v[92:93], off offset:512 slc
	global_load_dwordx4 v[88:91], v[92:93], off offset:1024 slc
	;; [unrolled: 1-line block ×3, first 2 shown]
	v_add_co_u32 v46, vcc_lo, v100, v66
	v_add_co_ci_u32_e64 v47, null, v101, v67, vcc_lo
	v_add_co_u32 v68, vcc_lo, v68, v98
	v_add_co_ci_u32_e64 v69, null, 0, v69, vcc_lo
	;; [unrolled: 2-line block ×3, first 2 shown]
	v_cmp_gt_i32_e32 vcc_lo, 1, v70
	v_add_co_u32 v104, s14, 0x800, v46
	v_add_co_ci_u32_e64 v105, null, 0, v47, s14
	s_or_b32 s46, vcc_lo, s46
	s_waitcnt vmcnt(7)
	global_store_dwordx4 v[46:47], v[80:83], off glc slc
	s_waitcnt vmcnt(6)
	global_store_dwordx4 v[46:47], v[42:45], off offset:512 glc slc
	s_waitcnt vmcnt(5)
	global_store_dwordx4 v[46:47], v[56:59], off offset:1024 glc slc
	;; [unrolled: 2-line block ×3, first 2 shown]
	s_waitcnt vmcnt(3)
	global_store_dwordx4 v[104:105], v[71:74], off glc slc
	s_waitcnt vmcnt(2)
	global_store_dwordx4 v[104:105], v[75:78], off offset:512 glc slc
	s_waitcnt vmcnt(1)
	global_store_dwordx4 v[104:105], v[88:91], off offset:1024 glc slc
	;; [unrolled: 2-line block ×3, first 2 shown]
	s_andn2_b32 exec_lo, exec_lo, s46
	s_cbranch_execnz .LBB6_166
; %bb.167:                              ;   in Loop: Header=BB6_93 Depth=3
	s_or_b32 exec_lo, exec_lo, s46
.LBB6_168:                              ;   in Loop: Header=BB6_93 Depth=3
	s_or_b32 exec_lo, exec_lo, s15
	v_lshlrev_b32_e32 v68, 12, v55
	v_mov_b32_e32 v55, 0
	s_mov_b32 s14, 0
	s_mov_b32 s46, exec_lo
                                        ; implicit-def: $vgpr66
                                        ; implicit-def: $vgpr67
                                        ; implicit-def: $vgpr81
	v_cmpx_ne_u32_e64 v27, v68
	s_cbranch_execz .LBB6_176
; %bb.169:                              ;   in Loop: Header=BB6_93 Depth=3
	v_lshlrev_b32_e32 v55, 5, v70
	v_sub_nc_u32_e32 v67, v27, v68
	s_mov_b32 s47, exec_lo
	v_sub_nc_u32_e32 v55, v99, v55
	v_ashrrev_i32_e32 v69, 31, v67
	v_ashrrev_i32_e32 v66, 31, v55
	v_lshrrev_b32_e32 v69, 23, v69
	v_lshrrev_b32_e32 v66, 27, v66
	v_add_nc_u32_e32 v80, v67, v69
	v_add_nc_u32_e32 v66, v55, v66
	v_and_b32_e32 v69, 0xfffffe00, v80
	v_ashrrev_i32_e32 v80, 9, v80
	v_and_b32_e32 v70, 0xffffffe0, v66
	v_sub_nc_u32_e32 v71, v67, v69
	v_ashrrev_i32_e32 v81, 5, v66
	v_sub_nc_u32_e32 v70, v55, v70
	v_cmp_lt_i32_e32 vcc_lo, 15, v71
	v_lshlrev_b32_e32 v55, 4, v70
	v_add_co_ci_u32_e64 v80, null, 0, v80, vcc_lo
	v_lshl_add_u32 v66, v81, 9, v55
	v_sub_nc_u32_e32 v80, v80, v81
	v_sub_nc_u32_e32 v55, v67, v66
	v_cmpx_lt_i32_e32 15, v55
	s_cbranch_execz .LBB6_173
; %bb.170:                              ;   in Loop: Header=BB6_93 Depth=3
	v_add_nc_u32_e32 v66, v66, v68
	s_mov_b32 s56, 0
	v_ashrrev_i32_e32 v67, 31, v66
	.p2align	6
.LBB6_171:                              ;   Parent Loop BB6_53 Depth=1
                                        ;     Parent Loop BB6_89 Depth=2
                                        ;       Parent Loop BB6_93 Depth=3
                                        ; =>      This Inner Loop Header: Depth=4
	v_add_co_u32 v81, s14, v53, v66
	v_add_co_ci_u32_e64 v82, null, v54, v67, s14
	v_sub_nc_u32_e32 v55, v55, v102
	v_add_co_u32 v42, s14, v64, v66
	global_load_dwordx4 v[81:84], v[81:82], off slc
	v_add_co_ci_u32_e64 v43, null, v65, v67, s14
	v_cmp_gt_i32_e64 s14, 16, v55
	v_add_co_u32 v66, s15, v66, v102
	v_sub_nc_u32_e32 v80, v80, v97
	v_add_co_ci_u32_e64 v67, null, 0, v67, s15
	s_or_b32 s56, s14, s56
	s_waitcnt vmcnt(0)
	global_store_dwordx4 v[42:43], v[81:84], off glc slc
	s_andn2_b32 exec_lo, exec_lo, s56
	s_cbranch_execnz .LBB6_171
; %bb.172:                              ;   in Loop: Header=BB6_93 Depth=3
	s_or_b32 exec_lo, exec_lo, s56
.LBB6_173:                              ;   in Loop: Header=BB6_93 Depth=3
	s_or_b32 exec_lo, exec_lo, s47
	v_and_b32_e32 v82, 15, v27
	v_mov_b32_e32 v55, 0
	s_mov_b32 s15, 0
	s_mov_b32 s47, exec_lo
                                        ; implicit-def: $vgpr67
                                        ; implicit-def: $vgpr81
	v_cndmask_b32_e32 v66, v71, v82, vcc_lo
	v_cmpx_ne_u32_e32 0, v66
	s_cbranch_execz .LBB6_175
; %bb.174:                              ;   in Loop: Header=BB6_93 Depth=3
	v_cmp_lt_i32_e64 s14, 0, v80
	s_mov_b32 s15, exec_lo
	v_cndmask_b32_e64 v55, 0, v97, s14
	v_sub_nc_u32_e32 v55, v55, v80
	v_lshl_add_u32 v67, v55, 5, v70
	v_sub_nc_u32_e32 v70, v71, v82
	v_ashrrev_i32_e32 v55, 31, v67
	v_cndmask_b32_e32 v70, 0, v70, vcc_lo
	v_lshrrev_b32_e32 v55, 27, v55
	v_add_nc_u32_e32 v71, v67, v55
	v_add3_u32 v55, v69, v68, v70
	v_ashrrev_i32_e32 v81, 5, v71
.LBB6_175:                              ;   in Loop: Header=BB6_93 Depth=3
	s_or_b32 exec_lo, exec_lo, s47
	s_and_b32 s14, s15, exec_lo
.LBB6_176:                              ;   in Loop: Header=BB6_93 Depth=3
	s_or_b32 exec_lo, exec_lo, s46
	s_and_saveexec_b32 s15, s14
	s_cbranch_execz .LBB6_185
.LBB6_177:                              ;   in Loop: Header=BB6_93 Depth=3
	v_ashrrev_i32_e32 v68, 31, v66
	v_ashrrev_i32_e32 v69, 31, v67
	s_mov_b32 s14, exec_lo
	v_lshrrev_b32_e32 v68, 22, v68
	v_lshrrev_b32_e32 v69, 27, v69
	v_add_nc_u32_e32 v68, v66, v68
	v_ashrrev_i32_e32 v70, 10, v68
	v_sub_nc_u32_e32 v68, v70, v81
	v_cmpx_lt_i32_e32 0, v68
	s_cbranch_execz .LBB6_181
; %bb.178:                              ;   in Loop: Header=BB6_93 Depth=3
	v_add_nc_u32_e32 v71, v67, v69
	v_lshlrev_b32_e32 v80, 10, v81
	s_mov_b32 s46, 0
	v_and_b32_e32 v71, 0xffffffe0, v71
	v_sub_nc_u32_e32 v71, v67, v71
	v_add3_u32 v71, v55, v71, v80
	v_ashrrev_i32_e32 v80, 31, v71
.LBB6_179:                              ;   Parent Loop BB6_53 Depth=1
                                        ;     Parent Loop BB6_89 Depth=2
                                        ;       Parent Loop BB6_93 Depth=3
                                        ; =>      This Inner Loop Header: Depth=4
	v_add_co_u32 v81, vcc_lo, v71, v53
	v_add_co_ci_u32_e64 v82, null, v80, v54, vcc_lo
	v_sub_nc_u32_e32 v68, v68, v97
	s_clause 0x1f
	flat_load_ubyte v83, v[81:82] slc
	flat_load_ubyte v84, v[81:82] offset:32 slc
	flat_load_ubyte v42, v[81:82] offset:64 slc
	;; [unrolled: 1-line block ×31, first 2 shown]
	v_add_co_u32 v81, vcc_lo, v71, v64
	v_add_co_ci_u32_e64 v82, null, v80, v65, vcc_lo
	v_add_co_u32 v53, vcc_lo, v53, v103
	v_add_co_ci_u32_e64 v54, null, 0, v54, vcc_lo
	;; [unrolled: 2-line block ×3, first 2 shown]
	v_cmp_gt_i32_e32 vcc_lo, 1, v68
	s_waitcnt vmcnt(31) lgkmcnt(31)
	flat_store_byte v[81:82], v83 glc slc
	s_waitcnt vmcnt(30) lgkmcnt(31)
	flat_store_byte v[81:82], v84 offset:32 glc slc
	s_waitcnt vmcnt(29) lgkmcnt(31)
	flat_store_byte v[81:82], v42 offset:64 glc slc
	;; [unrolled: 2-line block ×31, first 2 shown]
	s_or_b32 s46, vcc_lo, s46
	s_andn2_b32 exec_lo, exec_lo, s46
	s_cbranch_execnz .LBB6_179
; %bb.180:                              ;   in Loop: Header=BB6_93 Depth=3
	s_or_b32 exec_lo, exec_lo, s46
.LBB6_181:                              ;   in Loop: Header=BB6_93 Depth=3
	s_or_b32 exec_lo, exec_lo, s14
	v_lshlrev_b32_e32 v53, 10, v70
	v_cmp_ne_u32_e32 vcc_lo, v66, v53
	s_and_b32 exec_lo, exec_lo, vcc_lo
	s_cbranch_execz .LBB6_185
; %bb.182:                              ;   in Loop: Header=BB6_93 Depth=3
	v_add_nc_u32_e32 v54, v67, v69
	v_lshlrev_b32_e32 v64, 5, v68
	v_and_b32_e32 v54, 0xffffffe0, v54
	v_sub_nc_u32_e32 v54, v67, v54
	v_sub_nc_u32_e32 v54, v54, v64
	v_add_nc_u32_e32 v65, v53, v54
	v_sub_nc_u32_e32 v64, v66, v65
	v_cmp_lt_i32_e32 vcc_lo, 0, v64
	s_and_b32 exec_lo, exec_lo, vcc_lo
	s_cbranch_execz .LBB6_185
; %bb.183:                              ;   in Loop: Header=BB6_93 Depth=3
	s_trap 2
	ds_read_b64 v[53:54], v0
	v_add_nc_u32_e32 v55, v65, v55
	s_mov_b32 s46, 0
	v_ashrrev_i32_e32 v65, 31, v55
	.p2align	6
.LBB6_184:                              ;   Parent Loop BB6_53 Depth=1
                                        ;     Parent Loop BB6_89 Depth=2
                                        ;       Parent Loop BB6_93 Depth=3
                                        ; =>      This Inner Loop Header: Depth=4
	s_waitcnt lgkmcnt(0)
	v_add_co_u32 v66, vcc_lo, v53, v55
	v_add_co_ci_u32_e64 v67, null, v54, v65, vcc_lo
	v_sub_nc_u32_e32 v64, v64, v112
	v_add_co_u32 v55, s14, v55, v112
	flat_load_ubyte v68, v[66:67] slc
	v_add_co_ci_u32_e64 v65, null, 0, v65, s14
	v_cmp_gt_i32_e32 vcc_lo, 1, v64
	s_or_b32 s46, vcc_lo, s46
	s_waitcnt vmcnt(0) lgkmcnt(0)
	flat_store_byte v[66:67], v68 glc slc
	s_andn2_b32 exec_lo, exec_lo, s46
	s_cbranch_execnz .LBB6_184
.LBB6_185:                              ;   in Loop: Header=BB6_93 Depth=3
	s_or_b32 exec_lo, exec_lo, s15
	v_cmp_lt_i32_e64 s14, 0, v27
	s_and_saveexec_b32 s15, s5
	s_cbranch_execz .LBB6_204
.LBB6_186:                              ;   in Loop: Header=BB6_93 Depth=3
	s_and_saveexec_b32 s46, s24
	s_xor_b32 s46, exec_lo, s46
	s_cbranch_execz .LBB6_201
; %bb.187:                              ;   in Loop: Header=BB6_93 Depth=3
	s_and_saveexec_b32 s47, s7
	s_cbranch_execz .LBB6_200
; %bb.188:                              ;   in Loop: Header=BB6_93 Depth=3
	s_mov_b32 s57, exec_lo
	s_mov_b32 s56, exec_lo
	v_mbcnt_lo_u32_b32 v27, s57, 0
	s_waitcnt vmcnt(0) lgkmcnt(0)
	s_waitcnt_vscnt null, 0x0
	buffer_gl1_inv
	buffer_gl0_inv
	v_cmpx_eq_u32_e32 0, v27
	s_cbranch_execz .LBB6_190
; %bb.189:                              ;   in Loop: Header=BB6_93 Depth=3
	s_bcnt1_i32_b32 s57, s57
	v_mov_b32_e32 v54, v26
	v_mov_b32_e32 v53, s57
	ds_add_u64 v0, v[53:54]
	s_trap 2
.LBB6_190:                              ;   in Loop: Header=BB6_93 Depth=3
	s_or_b32 exec_lo, exec_lo, s56
	s_trap 2
	ds_read_b64 v[53:54], v0
	s_waitcnt lgkmcnt(0)
	buffer_gl0_inv
	v_add_co_u32 v10, vcc_lo, v10, v97
	v_add_co_ci_u32_e64 v11, null, 0, v11, vcc_lo
	s_mov_b32 s56, exec_lo
	v_cmpx_lt_u64_e64 v[53:54], v[10:11]
	s_cbranch_execz .LBB6_199
; %bb.191:                              ;   in Loop: Header=BB6_93 Depth=3
	s_mov_b32 s57, 0
	s_mov_b32 s60, 0
                                        ; implicit-def: $sgpr58
                                        ; implicit-def: $sgpr59
	s_inst_prefetch 0x1
	s_branch .LBB6_193
	.p2align	6
.LBB6_192:                              ;   in Loop: Header=BB6_193 Depth=4
	s_or_b32 exec_lo, exec_lo, s62
	s_and_b32 s61, exec_lo, s63
	s_or_b32 s57, s61, s57
	s_andn2_b32 s58, s58, exec_lo
	s_and_b32 s61, s59, exec_lo
	s_or_b32 s58, s58, s61
	s_andn2_b32 exec_lo, exec_lo, s57
	s_cbranch_execz .LBB6_197
.LBB6_193:                              ;   Parent Loop BB6_53 Depth=1
                                        ;     Parent Loop BB6_89 Depth=2
                                        ;       Parent Loop BB6_93 Depth=3
                                        ; =>      This Inner Loop Header: Depth=4
	s_add_i32 s60, s60, 1
	s_cmpk_lg_i32 s60, 0x2710
	s_cselect_b32 s61, -1, 0
	s_and_b32 vcc_lo, exec_lo, s61
	s_cbranch_vccz .LBB6_195
; %bb.194:                              ;   in Loop: Header=BB6_193 Depth=4
	s_mov_b32 s63, -1
	s_or_b32 s59, s59, exec_lo
	s_and_saveexec_b32 s62, s61
	s_cbranch_execz .LBB6_192
	s_branch .LBB6_196
	.p2align	6
.LBB6_195:                              ;   in Loop: Header=BB6_193 Depth=4
	s_trap 2
	ds_read_b64 v[53:54], v0
	s_andn2_b32 s61, s61, exec_lo
	s_mov_b32 s60, 0
	s_waitcnt lgkmcnt(0)
	flat_load_dword v27, v[53:54] glc dlc
	s_waitcnt vmcnt(0) lgkmcnt(0)
	buffer_gl1_inv
	buffer_gl0_inv
	v_cmp_eq_u32_e32 vcc_lo, 0, v27
	s_and_b32 s62, vcc_lo, exec_lo
	s_or_b32 s61, s61, s62
	s_mov_b32 s63, -1
	s_or_b32 s59, s59, exec_lo
	s_and_saveexec_b32 s62, s61
	s_cbranch_execz .LBB6_192
.LBB6_196:                              ;   in Loop: Header=BB6_193 Depth=4
	s_sleep 1
	s_trap 2
	ds_read_b64 v[53:54], v0
	s_waitcnt lgkmcnt(0)
	buffer_gl0_inv
	s_andn2_b32 s59, s59, exec_lo
	v_cmp_ge_u64_e32 vcc_lo, v[53:54], v[10:11]
	s_orn2_b32 s63, vcc_lo, exec_lo
	s_branch .LBB6_192
.LBB6_197:                              ;   in Loop: Header=BB6_93 Depth=3
	s_inst_prefetch 0x2
	s_or_b32 exec_lo, exec_lo, s57
	s_and_saveexec_b32 s57, s58
	s_xor_b32 s57, exec_lo, s57
	s_cbranch_execz .LBB6_199
; %bb.198:                              ;   in Loop: Header=BB6_93 Depth=3
	ds_write_b32 v0, v116
	s_trap 2
.LBB6_199:                              ;   in Loop: Header=BB6_93 Depth=3
	s_or_b32 exec_lo, exec_lo, s56
	;;#ASMSTART
	s_wakeup
	;;#ASMEND
.LBB6_200:                              ;   in Loop: Header=BB6_93 Depth=3
	s_or_b32 exec_lo, exec_lo, s47
.LBB6_201:                              ;   in Loop: Header=BB6_93 Depth=3
	s_andn2_saveexec_b32 s46, s46
	s_cbranch_execz .LBB6_203
; %bb.202:                              ;   in Loop: Header=BB6_93 Depth=3
	s_waitcnt vmcnt(0) lgkmcnt(0)
	s_waitcnt_vscnt null, 0x0
	buffer_gl1_inv
	buffer_gl0_inv
	s_barrier
.LBB6_203:                              ;   in Loop: Header=BB6_93 Depth=3
	s_or_b32 exec_lo, exec_lo, s46
.LBB6_204:                              ;   in Loop: Header=BB6_93 Depth=3
	s_or_b32 exec_lo, exec_lo, s15
	v_and_b32_e32 v27, 16, v87
	v_cmp_ne_u32_e32 vcc_lo, 0, v27
	s_and_b32 s15, vcc_lo, s14
	s_and_saveexec_b32 s14, s15
	s_cbranch_execz .LBB6_206
; %bb.205:                              ;   in Loop: Header=BB6_93 Depth=3
	s_waitcnt vmcnt(0) lgkmcnt(0)
	s_waitcnt_vscnt null, 0x0
	buffer_gl1_inv
	buffer_gl0_inv
.LBB6_206:                              ;   in Loop: Header=BB6_93 Depth=3
	s_or_b32 exec_lo, exec_lo, s14
	s_mov_b32 s14, exec_lo
	v_cmpx_ne_u32_e32 0, v27
	s_cbranch_execz .LBB6_92
; %bb.207:                              ;   in Loop: Header=BB6_93 Depth=3
	s_and_saveexec_b32 s15, s13
	s_cbranch_execz .LBB6_91
; %bb.208:                              ;   in Loop: Header=BB6_93 Depth=3
	s_waitcnt vmcnt(0) lgkmcnt(0)
	s_waitcnt_vscnt null, 0x0
	flat_store_dword v[20:21], v116
	s_branch .LBB6_91
.LBB6_209:                              ;   in Loop: Header=BB6_89 Depth=2
	s_or_b32 exec_lo, exec_lo, s43
.LBB6_210:                              ;   in Loop: Header=BB6_89 Depth=2
	s_or_b32 exec_lo, exec_lo, s42
	s_mov_b32 s15, exec_lo
	v_cmpx_gt_i32_e32 2, v27
	s_cbranch_execz .LBB6_261
; %bb.211:                              ;   in Loop: Header=BB6_89 Depth=2
	v_cmp_eq_u32_e64 s43, 0, v27
	s_mov_b32 s42, 0
	s_branch .LBB6_214
.LBB6_212:                              ;   in Loop: Header=BB6_214 Depth=3
	s_or_b32 exec_lo, exec_lo, s43
	v_add_co_u32 v48, vcc_lo, v48, 2
	v_add_co_ci_u32_e64 v49, null, 0, v49, vcc_lo
	s_waitcnt vmcnt(0) lgkmcnt(0)
	s_waitcnt_vscnt null, 0x0
	flat_store_dwordx2 v[16:17], v[48:49]
.LBB6_213:                              ;   in Loop: Header=BB6_214 Depth=3
	s_or_b32 exec_lo, exec_lo, s14
	v_add_nc_u32_e32 v9, v52, v9
	s_mov_b32 s43, 0
	s_andn2_b32 exec_lo, exec_lo, s42
	s_cbranch_execz .LBB6_260
.LBB6_214:                              ;   Parent Loop BB6_53 Depth=1
                                        ;     Parent Loop BB6_89 Depth=2
                                        ; =>    This Loop Header: Depth=3
                                        ;         Child Loop BB6_220 Depth 4
                                        ;         Child Loop BB6_244 Depth 4
	v_sub_nc_u32_e32 v27, v8, v9
	v_and_b32_e32 v53, 8, v87
	s_mov_b32 s44, exec_lo
	v_min_i32_e32 v52, v52, v27
	v_cmpx_ne_u32_e32 0, v53
	s_cbranch_execz .LBB6_236
; %bb.215:                              ;   in Loop: Header=BB6_214 Depth=3
	s_waitcnt vmcnt(0)
	v_add_co_u32 v64, vcc_lo, v22, 8
	v_add_co_ci_u32_e64 v65, null, 0, v23, vcc_lo
	v_add_co_u32 v54, vcc_lo, v48, 2
	v_add_co_ci_u32_e64 v55, null, 0, v49, vcc_lo
	s_mov_b32 s45, exec_lo
	v_cmpx_lt_u64_e64 v[64:65], v[54:55]
	s_cbranch_execz .LBB6_227
; %bb.216:                              ;   in Loop: Header=BB6_214 Depth=3
	v_and_b32_e32 v22, 64, v87
	s_mov_b32 s46, 0
	s_mov_b32 s58, 0
                                        ; implicit-def: $sgpr47
                                        ; implicit-def: $sgpr56
                                        ; implicit-def: $sgpr57
	v_cmp_eq_u32_e32 vcc_lo, 0, v22
	s_branch .LBB6_220
.LBB6_217:                              ;   in Loop: Header=BB6_220 Depth=4
	s_waitcnt vmcnt(0) lgkmcnt(0)
	v_add_co_u32 v64, s14, v22, 8
	v_add_co_ci_u32_e64 v65, null, 0, v23, s14
	s_or_b32 s61, s61, exec_lo
	v_cmp_ge_u64_e64 s14, v[64:65], v[54:55]
	s_orn2_b32 s60, s14, exec_lo
.LBB6_218:                              ;   in Loop: Header=BB6_220 Depth=4
	s_or_b32 exec_lo, exec_lo, s63
	s_andn2_b32 s14, s57, exec_lo
	s_and_b32 s57, s61, exec_lo
	s_andn2_b32 s56, s56, exec_lo
	s_and_b32 s60, s60, exec_lo
	s_or_b32 s57, s14, s57
	s_or_b32 s56, s56, s60
.LBB6_219:                              ;   in Loop: Header=BB6_220 Depth=4
	s_or_b32 exec_lo, exec_lo, s59
	s_and_b32 s14, exec_lo, s56
	s_or_b32 s46, s14, s46
	s_andn2_b32 s14, s47, exec_lo
	s_and_b32 s47, s57, exec_lo
	s_or_b32 s47, s14, s47
	s_andn2_b32 exec_lo, exec_lo, s46
	s_cbranch_execz .LBB6_224
.LBB6_220:                              ;   Parent Loop BB6_53 Depth=1
                                        ;     Parent Loop BB6_89 Depth=2
                                        ;       Parent Loop BB6_214 Depth=3
                                        ; =>      This Inner Loop Header: Depth=4
	s_sleep 1
	s_waitcnt vmcnt(0) lgkmcnt(0)
	flat_load_dwordx2 v[22:23], v[16:17] glc dlc
	s_or_b32 s57, s57, exec_lo
	s_or_b32 s56, s56, exec_lo
                                        ; implicit-def: $vgpr27
	s_and_saveexec_b32 s59, vcc_lo
	s_cbranch_execz .LBB6_219
; %bb.221:                              ;   in Loop: Header=BB6_220 Depth=4
	s_cmpk_lt_i32 s58, 0x270f
	s_mov_b32 s60, -1
	s_cselect_b32 s62, -1, 0
	s_cmpk_gt_i32 s58, 0x270e
	s_cbranch_scc0 .LBB6_223
; %bb.222:                              ;   in Loop: Header=BB6_220 Depth=4
	s_trap 2
	ds_read_b64 v[64:65], v0
	s_andn2_b32 s58, s62, exec_lo
	s_mov_b32 s61, 0
	s_waitcnt vmcnt(0) lgkmcnt(0)
	s_waitcnt_vscnt null, 0x0
	flat_load_dword v27, v[64:65] glc dlc
	s_waitcnt vmcnt(0) lgkmcnt(0)
	buffer_gl1_inv
	buffer_gl0_inv
	v_cmp_eq_u32_e64 s14, 0, v27
	s_and_b32 s14, s14, exec_lo
	s_or_b32 s62, s58, s14
	s_mov_b32 s58, 0
	s_and_saveexec_b32 s63, s62
	s_cbranch_execz .LBB6_218
	s_branch .LBB6_217
.LBB6_223:                              ;   in Loop: Header=BB6_220 Depth=4
	s_add_i32 s58, s58, 1
	s_mov_b32 s61, -1
                                        ; implicit-def: $vgpr27
	s_and_saveexec_b32 s63, s62
	s_cbranch_execz .LBB6_218
	s_branch .LBB6_217
.LBB6_224:                              ;   in Loop: Header=BB6_214 Depth=3
	s_or_b32 exec_lo, exec_lo, s46
	s_xor_b32 s14, s47, -1
	s_and_saveexec_b32 s46, s14
	s_xor_b32 s14, exec_lo, s46
	s_cbranch_execz .LBB6_226
; %bb.225:                              ;   in Loop: Header=BB6_214 Depth=3
	v_or_b32_e32 v87, 64, v87
	s_waitcnt vmcnt(0) lgkmcnt(0)
	s_waitcnt_vscnt null, 0x0
	ds_write_b32 v0, v27
	s_trap 2
.LBB6_226:                              ;   in Loop: Header=BB6_214 Depth=3
	s_or_b32 exec_lo, exec_lo, s14
.LBB6_227:                              ;   in Loop: Header=BB6_214 Depth=3
	s_or_b32 exec_lo, exec_lo, s45
	v_and_b32_e32 v27, 0x100, v87
	s_mov_b32 s14, -1
	;;#ASMSTART
	s_wakeup
	;;#ASMEND
	v_cmp_ne_u32_e32 vcc_lo, 0, v27
	v_and_b32_e32 v27, 7, v48
                                        ; implicit-def: $vgpr48_vgpr49
	s_and_saveexec_b32 s45, vcc_lo
	s_cbranch_execz .LBB6_231
; %bb.228:                              ;   in Loop: Header=BB6_214 Depth=3
	v_mad_u64_u32 v[64:65], null, v27, 24, v[4:5]
	v_ashrrev_i32_e32 v53, 31, v52
	flat_load_dword v48, v[64:65]
	flat_store_dwordx2 v[64:65], v[52:53] offset:8
	s_waitcnt vmcnt(0) lgkmcnt(1)
	v_cmp_eq_u32_e64 s14, 1, v48
	v_cmp_ne_u32_e32 vcc_lo, 1, v48
                                        ; implicit-def: $vgpr48_vgpr49
	s_and_saveexec_b32 s46, s14
	s_cbranch_execz .LBB6_230
; %bb.229:                              ;   in Loop: Header=BB6_214 Depth=3
	flat_load_dword v48, v[64:65] offset:4 glc dlc
	s_waitcnt vmcnt(0) lgkmcnt(0)
	v_ashrrev_i32_e32 v49, 31, v48
.LBB6_230:                              ;   in Loop: Header=BB6_214 Depth=3
	s_or_b32 exec_lo, exec_lo, s46
	s_orn2_b32 s14, vcc_lo, exec_lo
.LBB6_231:                              ;   in Loop: Header=BB6_214 Depth=3
	s_or_b32 exec_lo, exec_lo, s45
	s_and_saveexec_b32 s45, s14
; %bb.232:                              ;   in Loop: Header=BB6_214 Depth=3
	v_mad_i64_i32 v[48:49], null, v27, v96, 0
; %bb.233:                              ;   in Loop: Header=BB6_214 Depth=3
	s_or_b32 exec_lo, exec_lo, s45
	v_add_co_u32 v48, vcc_lo, v18, v48
	v_and_b32_e32 v27, 0x2000, v87
	v_add_co_ci_u32_e64 v49, null, v19, v49, vcc_lo
	s_mov_b32 s14, exec_lo
	ds_write_b64 v0, v[48:49] offset:784
	v_cmpx_ne_u32_e32 0, v27
	s_cbranch_execz .LBB6_235
; %bb.234:                              ;   in Loop: Header=BB6_214 Depth=3
	ds_read_b64 v[48:49], v0 offset:872
	s_waitcnt lgkmcnt(0)
	v_add_co_u32 v48, vcc_lo, v48, 1
	v_add_co_ci_u32_e64 v49, null, 0, v49, vcc_lo
	ds_write_b64 v0, v[48:49] offset:872
.LBB6_235:                              ;   in Loop: Header=BB6_214 Depth=3
	s_or_b32 exec_lo, exec_lo, s14
	v_mov_b32_e32 v48, v54
	v_mov_b32_e32 v49, v55
.LBB6_236:                              ;   in Loop: Header=BB6_214 Depth=3
	s_or_b32 exec_lo, exec_lo, s44
	s_xor_b32 s14, s43, -1
	s_and_b32 s14, exec_lo, s14
	s_or_b32 s42, s14, s42
	s_and_saveexec_b32 s14, s5
	s_cbranch_execz .LBB6_255
; %bb.237:                              ;   in Loop: Header=BB6_214 Depth=3
	s_and_saveexec_b32 s43, s24
	s_xor_b32 s43, exec_lo, s43
	s_cbranch_execz .LBB6_252
; %bb.238:                              ;   in Loop: Header=BB6_214 Depth=3
	s_and_saveexec_b32 s44, s7
	s_cbranch_execz .LBB6_251
; %bb.239:                              ;   in Loop: Header=BB6_214 Depth=3
	s_mov_b32 s46, exec_lo
	s_mov_b32 s45, exec_lo
	v_mbcnt_lo_u32_b32 v27, s46, 0
	s_waitcnt vmcnt(0) lgkmcnt(0)
	s_waitcnt_vscnt null, 0x0
	buffer_gl1_inv
	buffer_gl0_inv
	v_cmpx_eq_u32_e32 0, v27
	s_cbranch_execz .LBB6_241
; %bb.240:                              ;   in Loop: Header=BB6_214 Depth=3
	s_bcnt1_i32_b32 s46, s46
	v_mov_b32_e32 v54, v26
	v_mov_b32_e32 v53, s46
	ds_add_u64 v0, v[53:54]
	s_trap 2
.LBB6_241:                              ;   in Loop: Header=BB6_214 Depth=3
	s_or_b32 exec_lo, exec_lo, s45
	s_trap 2
	ds_read_b64 v[53:54], v0
	s_waitcnt lgkmcnt(0)
	buffer_gl0_inv
	v_add_co_u32 v10, vcc_lo, v10, v97
	v_add_co_ci_u32_e64 v11, null, 0, v11, vcc_lo
	s_mov_b32 s45, exec_lo
	v_cmpx_lt_u64_e64 v[53:54], v[10:11]
	s_cbranch_execz .LBB6_250
; %bb.242:                              ;   in Loop: Header=BB6_214 Depth=3
	s_mov_b32 s46, 0
	s_mov_b32 s57, 0
                                        ; implicit-def: $sgpr47
                                        ; implicit-def: $sgpr56
	s_inst_prefetch 0x1
	s_branch .LBB6_244
	.p2align	6
.LBB6_243:                              ;   in Loop: Header=BB6_244 Depth=4
	s_or_b32 exec_lo, exec_lo, s59
	s_and_b32 s58, exec_lo, s60
	s_or_b32 s46, s58, s46
	s_andn2_b32 s47, s47, exec_lo
	s_and_b32 s58, s56, exec_lo
	s_or_b32 s47, s47, s58
	s_andn2_b32 exec_lo, exec_lo, s46
	s_cbranch_execz .LBB6_248
.LBB6_244:                              ;   Parent Loop BB6_53 Depth=1
                                        ;     Parent Loop BB6_89 Depth=2
                                        ;       Parent Loop BB6_214 Depth=3
                                        ; =>      This Inner Loop Header: Depth=4
	s_add_i32 s57, s57, 1
	s_cmpk_lg_i32 s57, 0x2710
	s_cselect_b32 s58, -1, 0
	s_and_b32 vcc_lo, exec_lo, s58
	s_cbranch_vccz .LBB6_246
; %bb.245:                              ;   in Loop: Header=BB6_244 Depth=4
	s_mov_b32 s60, -1
	s_or_b32 s56, s56, exec_lo
	s_and_saveexec_b32 s59, s58
	s_cbranch_execz .LBB6_243
	s_branch .LBB6_247
	.p2align	6
.LBB6_246:                              ;   in Loop: Header=BB6_244 Depth=4
	s_trap 2
	ds_read_b64 v[53:54], v0
	s_andn2_b32 s58, s58, exec_lo
	s_mov_b32 s57, 0
	s_waitcnt lgkmcnt(0)
	flat_load_dword v27, v[53:54] glc dlc
	s_waitcnt vmcnt(0) lgkmcnt(0)
	buffer_gl1_inv
	buffer_gl0_inv
	v_cmp_eq_u32_e32 vcc_lo, 0, v27
	s_and_b32 s59, vcc_lo, exec_lo
	s_or_b32 s58, s58, s59
	s_mov_b32 s60, -1
	s_or_b32 s56, s56, exec_lo
	s_and_saveexec_b32 s59, s58
	s_cbranch_execz .LBB6_243
.LBB6_247:                              ;   in Loop: Header=BB6_244 Depth=4
	s_sleep 1
	s_trap 2
	ds_read_b64 v[53:54], v0
	s_waitcnt lgkmcnt(0)
	buffer_gl0_inv
	s_andn2_b32 s56, s56, exec_lo
	v_cmp_ge_u64_e32 vcc_lo, v[53:54], v[10:11]
	s_orn2_b32 s60, vcc_lo, exec_lo
	s_branch .LBB6_243
.LBB6_248:                              ;   in Loop: Header=BB6_214 Depth=3
	s_inst_prefetch 0x2
	s_or_b32 exec_lo, exec_lo, s46
	s_and_saveexec_b32 s46, s47
	s_xor_b32 s46, exec_lo, s46
	s_cbranch_execz .LBB6_250
; %bb.249:                              ;   in Loop: Header=BB6_214 Depth=3
	ds_write_b32 v0, v116
	s_trap 2
.LBB6_250:                              ;   in Loop: Header=BB6_214 Depth=3
	s_or_b32 exec_lo, exec_lo, s45
	;;#ASMSTART
	s_wakeup
	;;#ASMEND
.LBB6_251:                              ;   in Loop: Header=BB6_214 Depth=3
	s_or_b32 exec_lo, exec_lo, s44
.LBB6_252:                              ;   in Loop: Header=BB6_214 Depth=3
	s_andn2_saveexec_b32 s43, s43
	s_cbranch_execz .LBB6_254
; %bb.253:                              ;   in Loop: Header=BB6_214 Depth=3
	s_waitcnt vmcnt(0) lgkmcnt(0)
	s_waitcnt_vscnt null, 0x0
	buffer_gl1_inv
	buffer_gl0_inv
	s_barrier
.LBB6_254:                              ;   in Loop: Header=BB6_214 Depth=3
	s_or_b32 exec_lo, exec_lo, s43
.LBB6_255:                              ;   in Loop: Header=BB6_214 Depth=3
	s_or_b32 exec_lo, exec_lo, s14
	s_trap 2
	ds_read_b32 v27, v0
	v_cmp_lt_i32_e32 vcc_lo, 0, v52
	s_waitcnt lgkmcnt(0)
	v_readfirstlane_b32 s14, v27
	v_and_b32_e32 v27, 16, v87
	s_cmp_eq_u32 s14, 0
	v_cmp_ne_u32_e64 s14, 0, v27
	s_cselect_b32 s43, -1, 0
	s_and_b32 s43, vcc_lo, s43
	s_and_b32 s43, s14, s43
	s_and_saveexec_b32 s14, s43
	s_cbranch_execz .LBB6_257
; %bb.256:                              ;   in Loop: Header=BB6_214 Depth=3
	s_waitcnt vmcnt(0)
	s_waitcnt_vscnt null, 0x0
	buffer_gl1_inv
	buffer_gl0_inv
.LBB6_257:                              ;   in Loop: Header=BB6_214 Depth=3
	s_or_b32 exec_lo, exec_lo, s14
	s_mov_b32 s14, exec_lo
	v_cmpx_ne_u32_e32 0, v27
	s_cbranch_execz .LBB6_213
; %bb.258:                              ;   in Loop: Header=BB6_214 Depth=3
	s_and_saveexec_b32 s43, s13
	s_cbranch_execz .LBB6_212
; %bb.259:                              ;   in Loop: Header=BB6_214 Depth=3
	s_waitcnt vmcnt(0)
	s_waitcnt_vscnt null, 0x0
	flat_store_dword v[20:21], v116
	s_branch .LBB6_212
.LBB6_260:                              ;   in Loop: Header=BB6_89 Depth=2
	s_or_b32 exec_lo, exec_lo, s42
.LBB6_261:                              ;   in Loop: Header=BB6_89 Depth=2
	s_or_b32 exec_lo, exec_lo, s15
	s_andn2_b32 vcc_lo, exec_lo, s40
	s_cbranch_vccnz .LBB6_444
; %bb.262:                              ;   in Loop: Header=BB6_89 Depth=2
	v_max_i32_e32 v68, 0, v8
	s_mov_b32 s42, 0
	v_add_nc_u32_e32 v8, 31, v68
	v_lshrrev_b32_e32 v8, 1, v8
	v_and_b32_e32 v8, 0x3ffffff0, v8
	v_max_i32_e32 v69, s23, v8
	s_branch .LBB6_265
.LBB6_263:                              ;   in Loop: Header=BB6_265 Depth=3
	s_or_b32 exec_lo, exec_lo, s43
.LBB6_264:                              ;   in Loop: Header=BB6_265 Depth=3
	s_or_b32 exec_lo, exec_lo, s15
	s_add_i32 s42, s42, 1
	s_cmp_eq_u32 s42, s20
	s_cbranch_scc1 .LBB6_444
.LBB6_265:                              ;   Parent Loop BB6_53 Depth=1
                                        ;     Parent Loop BB6_89 Depth=2
                                        ; =>    This Loop Header: Depth=3
                                        ;         Child Loop BB6_268 Depth 4
                                        ;           Child Loop BB6_276 Depth 5
                                        ;           Child Loop BB6_304 Depth 5
	;; [unrolled: 1-line block ×8, first 2 shown]
                                        ;         Child Loop BB6_393 Depth 4
                                        ;           Child Loop BB6_399 Depth 5
                                        ;           Child Loop BB6_427 Depth 5
	v_mov_b32_e32 v9, 0
	v_mov_b32_e32 v8, v69
	;; [unrolled: 1-line block ×3, first 2 shown]
	s_and_saveexec_b32 s43, s41
	s_cbranch_execz .LBB6_390
; %bb.266:                              ;   in Loop: Header=BB6_265 Depth=3
	v_mov_b32_e32 v70, 0
	v_mov_b32_e32 v8, v69
	s_mov_b32 s46, 1
	s_mov_b32 s45, -1
	s_mov_b32 s44, 0
	s_branch .LBB6_268
.LBB6_267:                              ;   in Loop: Header=BB6_268 Depth=4
	s_or_b32 exec_lo, exec_lo, s14
	v_add_nc_u32_e32 v70, v8, v70
	s_xor_b32 s14, s45, -1
	v_mov_b32_e32 v9, s46
	s_mov_b32 s45, 0
	s_mov_b32 s46, 2
	v_cmp_ge_i32_e32 vcc_lo, v70, v68
	s_or_b32 s14, s14, vcc_lo
	s_and_b32 s14, exec_lo, s14
	s_or_b32 s44, s14, s44
	s_andn2_b32 exec_lo, exec_lo, s44
	s_cbranch_execz .LBB6_389
.LBB6_268:                              ;   Parent Loop BB6_53 Depth=1
                                        ;     Parent Loop BB6_89 Depth=2
                                        ;       Parent Loop BB6_265 Depth=3
                                        ; =>      This Loop Header: Depth=4
                                        ;           Child Loop BB6_276 Depth 5
                                        ;           Child Loop BB6_304 Depth 5
	;; [unrolled: 1-line block ×8, first 2 shown]
	s_and_saveexec_b32 s14, s4
	s_cbranch_execz .LBB6_270
; %bb.269:                              ;   in Loop: Header=BB6_268 Depth=4
	v_mov_b32_e32 v27, v26
	ds_write_b64 v0, v[26:27]
	s_trap 2
.LBB6_270:                              ;   in Loop: Header=BB6_268 Depth=4
	s_or_b32 exec_lo, exec_lo, s14
	v_sub_nc_u32_e32 v9, v68, v70
	v_and_b32_e32 v27, 12, v87
	s_mov_b32 s15, exec_lo
	v_min_i32_e32 v8, v8, v9
	v_cmpx_ne_u32_e32 0, v27
	s_cbranch_execz .LBB6_296
; %bb.271:                              ;   in Loop: Header=BB6_268 Depth=4
	v_and_b32_e32 v27, 8, v87
	s_mov_b32 s47, exec_lo
	s_waitcnt vmcnt(0)
	v_add_co_u32 v54, vcc_lo, v22, v27
	v_add_co_ci_u32_e64 v55, null, 0, v23, vcc_lo
	v_add_co_u32 v52, vcc_lo, v48, 2
	v_add_co_ci_u32_e64 v53, null, 0, v49, vcc_lo
	v_cmpx_lt_u64_e64 v[54:55], v[52:53]
	s_cbranch_execz .LBB6_283
; %bb.272:                              ;   in Loop: Header=BB6_268 Depth=4
	v_and_b32_e32 v9, 64, v87
	s_mov_b32 s56, 0
	s_mov_b32 s60, 0
                                        ; implicit-def: $sgpr57
                                        ; implicit-def: $sgpr58
                                        ; implicit-def: $sgpr59
	v_cmp_eq_u32_e32 vcc_lo, 0, v9
	s_branch .LBB6_276
.LBB6_273:                              ;   in Loop: Header=BB6_276 Depth=5
	s_waitcnt vmcnt(0) lgkmcnt(0)
	v_add_co_u32 v54, s14, v22, v27
	v_add_co_ci_u32_e64 v55, null, 0, v23, s14
	s_or_b32 s63, s63, exec_lo
	v_cmp_ge_u64_e64 s14, v[54:55], v[52:53]
	s_orn2_b32 s62, s14, exec_lo
.LBB6_274:                              ;   in Loop: Header=BB6_276 Depth=5
	s_or_b32 exec_lo, exec_lo, s73
	s_andn2_b32 s14, s59, exec_lo
	s_and_b32 s59, s63, exec_lo
	s_andn2_b32 s58, s58, exec_lo
	s_and_b32 s62, s62, exec_lo
	s_or_b32 s59, s14, s59
	s_or_b32 s58, s58, s62
.LBB6_275:                              ;   in Loop: Header=BB6_276 Depth=5
	s_or_b32 exec_lo, exec_lo, s61
	s_and_b32 s14, exec_lo, s58
	s_or_b32 s56, s14, s56
	s_andn2_b32 s14, s57, exec_lo
	s_and_b32 s57, s59, exec_lo
	s_or_b32 s57, s14, s57
	s_andn2_b32 exec_lo, exec_lo, s56
	s_cbranch_execz .LBB6_280
.LBB6_276:                              ;   Parent Loop BB6_53 Depth=1
                                        ;     Parent Loop BB6_89 Depth=2
                                        ;       Parent Loop BB6_265 Depth=3
                                        ;         Parent Loop BB6_268 Depth=4
                                        ; =>        This Inner Loop Header: Depth=5
	s_sleep 1
	s_waitcnt vmcnt(0) lgkmcnt(0)
	flat_load_dwordx2 v[22:23], v[16:17] glc dlc
	s_or_b32 s59, s59, exec_lo
	s_or_b32 s58, s58, exec_lo
                                        ; implicit-def: $vgpr9
	s_and_saveexec_b32 s61, vcc_lo
	s_cbranch_execz .LBB6_275
; %bb.277:                              ;   in Loop: Header=BB6_276 Depth=5
	s_cmpk_lt_i32 s60, 0x270f
	s_mov_b32 s62, -1
	s_cselect_b32 s72, -1, 0
	s_cmpk_gt_i32 s60, 0x270e
	s_cbranch_scc0 .LBB6_279
; %bb.278:                              ;   in Loop: Header=BB6_276 Depth=5
	s_trap 2
	ds_read_b64 v[54:55], v0
	s_andn2_b32 s60, s72, exec_lo
	s_mov_b32 s63, 0
	s_waitcnt vmcnt(0) lgkmcnt(0)
	s_waitcnt_vscnt null, 0x0
	flat_load_dword v9, v[54:55] glc dlc
	s_waitcnt vmcnt(0) lgkmcnt(0)
	buffer_gl1_inv
	buffer_gl0_inv
	v_cmp_eq_u32_e64 s14, 0, v9
	s_and_b32 s14, s14, exec_lo
	s_or_b32 s72, s60, s14
	s_mov_b32 s60, 0
	s_and_saveexec_b32 s73, s72
	s_cbranch_execz .LBB6_274
	s_branch .LBB6_273
.LBB6_279:                              ;   in Loop: Header=BB6_276 Depth=5
	s_add_i32 s60, s60, 1
	s_mov_b32 s63, -1
                                        ; implicit-def: $vgpr9
	s_and_saveexec_b32 s73, s72
	s_cbranch_execz .LBB6_274
	s_branch .LBB6_273
.LBB6_280:                              ;   in Loop: Header=BB6_268 Depth=4
	s_or_b32 exec_lo, exec_lo, s56
	s_xor_b32 s14, s57, -1
	s_and_saveexec_b32 s56, s14
	s_xor_b32 s14, exec_lo, s56
	s_cbranch_execz .LBB6_282
; %bb.281:                              ;   in Loop: Header=BB6_268 Depth=4
	v_or_b32_e32 v87, 64, v87
	s_waitcnt vmcnt(0) lgkmcnt(0)
	s_waitcnt_vscnt null, 0x0
	ds_write_b32 v0, v9
	s_trap 2
.LBB6_282:                              ;   in Loop: Header=BB6_268 Depth=4
	s_or_b32 exec_lo, exec_lo, s14
.LBB6_283:                              ;   in Loop: Header=BB6_268 Depth=4
	s_or_b32 exec_lo, exec_lo, s47
	v_and_b32_e32 v9, 0x108, v87
	v_and_b32_e32 v64, 7, v48
	s_mov_b32 s14, exec_lo
	;;#ASMSTART
	s_wakeup
	;;#ASMEND
	v_cmpx_ne_u32_e32 0x108, v9
	s_xor_b32 s14, exec_lo, s14
                                        ; implicit-def: $vgpr65
; %bb.284:                              ;   in Loop: Header=BB6_268 Depth=4
	v_mov_b32_e32 v65, v26
; %bb.285:                              ;   in Loop: Header=BB6_268 Depth=4
	s_andn2_saveexec_b32 s14, s14
	s_cbranch_execz .LBB6_287
; %bb.286:                              ;   in Loop: Header=BB6_268 Depth=4
	v_mad_u64_u32 v[48:49], null, v64, 24, v[4:5]
	v_ashrrev_i32_e32 v9, 31, v8
	v_mov_b32_e32 v65, v26
	flat_store_dwordx2 v[48:49], v[8:9] offset:8
.LBB6_287:                              ;   in Loop: Header=BB6_268 Depth=4
	s_or_b32 exec_lo, exec_lo, s14
	v_and_b32_e32 v9, 0x100, v87
	s_mov_b32 s14, -1
	s_mov_b32 s47, exec_lo
                                        ; implicit-def: $vgpr48_vgpr49
	v_cmpx_ne_u32_e32 0, v9
	s_cbranch_execz .LBB6_291
; %bb.288:                              ;   in Loop: Header=BB6_268 Depth=4
	v_mad_u64_u32 v[54:55], null, v64, 24, v[4:5]
	s_mov_b32 s56, exec_lo
	v_mov_b32_e32 v9, v55
	v_mad_u64_u32 v[48:49], null, v65, 24, v[9:10]
	v_mov_b32_e32 v55, v48
                                        ; implicit-def: $vgpr48_vgpr49
	flat_load_dword v9, v[54:55]
	s_waitcnt vmcnt(0) lgkmcnt(0)
	v_cmp_ne_u32_e32 vcc_lo, 1, v9
	v_cmpx_eq_u32_e32 1, v9
	s_cbranch_execz .LBB6_290
; %bb.289:                              ;   in Loop: Header=BB6_268 Depth=4
	flat_load_dword v48, v[54:55] offset:4 glc dlc
	s_waitcnt vmcnt(0) lgkmcnt(0)
	v_ashrrev_i32_e32 v49, 31, v48
.LBB6_290:                              ;   in Loop: Header=BB6_268 Depth=4
	s_or_b32 exec_lo, exec_lo, s56
	s_orn2_b32 s14, vcc_lo, exec_lo
.LBB6_291:                              ;   in Loop: Header=BB6_268 Depth=4
	s_or_b32 exec_lo, exec_lo, s47
	s_and_saveexec_b32 s47, s14
; %bb.292:                              ;   in Loop: Header=BB6_268 Depth=4
	v_mul_lo_u32 v9, v65, v96
	v_mul_lo_u32 v54, v64, v113
	v_mad_u64_u32 v[48:49], null, v64, v96, 0
	v_add3_u32 v49, v49, v54, v9
; %bb.293:                              ;   in Loop: Header=BB6_268 Depth=4
	s_or_b32 exec_lo, exec_lo, s47
	v_cmp_eq_u32_e32 vcc_lo, 0, v27
	v_and_b32_e32 v27, 0x2000, v87
	s_mov_b32 s14, exec_lo
	v_cndmask_b32_e32 v9, 0xc8, v117, vcc_lo
	v_add_co_u32 v48, vcc_lo, v18, v48
	v_add_co_ci_u32_e64 v49, null, v19, v49, vcc_lo
	v_add_nc_u32_e32 v9, v0, v9
	ds_write_b64 v9, v[48:49] offset:584
	v_cmpx_ne_u32_e32 0, v27
	s_cbranch_execz .LBB6_295
; %bb.294:                              ;   in Loop: Header=BB6_268 Depth=4
	ds_read_b64 v[48:49], v0 offset:872
	s_waitcnt lgkmcnt(0)
	v_add_co_u32 v48, vcc_lo, v48, 1
	v_add_co_ci_u32_e64 v49, null, 0, v49, vcc_lo
	ds_write_b64 v0, v[48:49] offset:872
.LBB6_295:                              ;   in Loop: Header=BB6_268 Depth=4
	s_or_b32 exec_lo, exec_lo, s14
	v_mov_b32_e32 v48, v52
	v_mov_b32_e32 v49, v53
.LBB6_296:                              ;   in Loop: Header=BB6_268 Depth=4
	s_or_b32 exec_lo, exec_lo, s15
	s_and_saveexec_b32 s14, s5
	s_cbranch_execz .LBB6_315
; %bb.297:                              ;   in Loop: Header=BB6_268 Depth=4
	s_and_saveexec_b32 s15, s24
	s_xor_b32 s15, exec_lo, s15
	s_cbranch_execz .LBB6_312
; %bb.298:                              ;   in Loop: Header=BB6_268 Depth=4
	s_and_saveexec_b32 s47, s7
	s_cbranch_execz .LBB6_311
; %bb.299:                              ;   in Loop: Header=BB6_268 Depth=4
	s_mov_b32 s57, exec_lo
	s_mov_b32 s56, exec_lo
	v_mbcnt_lo_u32_b32 v9, s57, 0
	s_waitcnt vmcnt(0) lgkmcnt(0)
	s_waitcnt_vscnt null, 0x0
	buffer_gl1_inv
	buffer_gl0_inv
	v_cmpx_eq_u32_e32 0, v9
	s_cbranch_execz .LBB6_301
; %bb.300:                              ;   in Loop: Header=BB6_268 Depth=4
	s_bcnt1_i32_b32 s57, s57
	v_mov_b32_e32 v53, v26
	v_mov_b32_e32 v52, s57
	ds_add_u64 v0, v[52:53]
	s_trap 2
.LBB6_301:                              ;   in Loop: Header=BB6_268 Depth=4
	s_or_b32 exec_lo, exec_lo, s56
	s_trap 2
	ds_read_b64 v[52:53], v0
	s_waitcnt lgkmcnt(0)
	buffer_gl0_inv
	v_add_co_u32 v10, vcc_lo, v10, v97
	v_add_co_ci_u32_e64 v11, null, 0, v11, vcc_lo
	s_mov_b32 s56, exec_lo
	v_cmpx_lt_u64_e64 v[52:53], v[10:11]
	s_cbranch_execz .LBB6_310
; %bb.302:                              ;   in Loop: Header=BB6_268 Depth=4
	s_mov_b32 s57, 0
	s_mov_b32 s60, 0
                                        ; implicit-def: $sgpr58
                                        ; implicit-def: $sgpr59
	s_inst_prefetch 0x1
	s_branch .LBB6_304
	.p2align	6
.LBB6_303:                              ;   in Loop: Header=BB6_304 Depth=5
	s_or_b32 exec_lo, exec_lo, s62
	s_and_b32 s61, exec_lo, s63
	s_or_b32 s57, s61, s57
	s_andn2_b32 s58, s58, exec_lo
	s_and_b32 s61, s59, exec_lo
	s_or_b32 s58, s58, s61
	s_andn2_b32 exec_lo, exec_lo, s57
	s_cbranch_execz .LBB6_308
.LBB6_304:                              ;   Parent Loop BB6_53 Depth=1
                                        ;     Parent Loop BB6_89 Depth=2
                                        ;       Parent Loop BB6_265 Depth=3
                                        ;         Parent Loop BB6_268 Depth=4
                                        ; =>        This Inner Loop Header: Depth=5
	s_add_i32 s60, s60, 1
	s_cmpk_lg_i32 s60, 0x2710
	s_cselect_b32 s61, -1, 0
	s_and_b32 vcc_lo, exec_lo, s61
	s_cbranch_vccz .LBB6_306
; %bb.305:                              ;   in Loop: Header=BB6_304 Depth=5
	s_mov_b32 s63, -1
	s_or_b32 s59, s59, exec_lo
	s_and_saveexec_b32 s62, s61
	s_cbranch_execz .LBB6_303
	s_branch .LBB6_307
	.p2align	6
.LBB6_306:                              ;   in Loop: Header=BB6_304 Depth=5
	s_trap 2
	ds_read_b64 v[52:53], v0
	s_andn2_b32 s61, s61, exec_lo
	s_mov_b32 s60, 0
	s_waitcnt lgkmcnt(0)
	flat_load_dword v9, v[52:53] glc dlc
	s_waitcnt vmcnt(0) lgkmcnt(0)
	buffer_gl1_inv
	buffer_gl0_inv
	v_cmp_eq_u32_e32 vcc_lo, 0, v9
	s_and_b32 s62, vcc_lo, exec_lo
	s_or_b32 s61, s61, s62
	s_mov_b32 s63, -1
	s_or_b32 s59, s59, exec_lo
	s_and_saveexec_b32 s62, s61
	s_cbranch_execz .LBB6_303
.LBB6_307:                              ;   in Loop: Header=BB6_304 Depth=5
	s_sleep 1
	s_trap 2
	ds_read_b64 v[52:53], v0
	s_waitcnt lgkmcnt(0)
	buffer_gl0_inv
	s_andn2_b32 s59, s59, exec_lo
	v_cmp_ge_u64_e32 vcc_lo, v[52:53], v[10:11]
	s_orn2_b32 s63, vcc_lo, exec_lo
	s_branch .LBB6_303
.LBB6_308:                              ;   in Loop: Header=BB6_268 Depth=4
	s_inst_prefetch 0x2
	s_or_b32 exec_lo, exec_lo, s57
	s_and_saveexec_b32 s57, s58
	s_xor_b32 s57, exec_lo, s57
	s_cbranch_execz .LBB6_310
; %bb.309:                              ;   in Loop: Header=BB6_268 Depth=4
	ds_write_b32 v0, v116
	s_trap 2
.LBB6_310:                              ;   in Loop: Header=BB6_268 Depth=4
	s_or_b32 exec_lo, exec_lo, s56
	;;#ASMSTART
	s_wakeup
	;;#ASMEND
.LBB6_311:                              ;   in Loop: Header=BB6_268 Depth=4
	s_or_b32 exec_lo, exec_lo, s47
.LBB6_312:                              ;   in Loop: Header=BB6_268 Depth=4
	s_andn2_saveexec_b32 s15, s15
	s_cbranch_execz .LBB6_314
; %bb.313:                              ;   in Loop: Header=BB6_268 Depth=4
	s_waitcnt vmcnt(0) lgkmcnt(0)
	s_waitcnt_vscnt null, 0x0
	buffer_gl1_inv
	buffer_gl0_inv
	s_barrier
.LBB6_314:                              ;   in Loop: Header=BB6_268 Depth=4
	s_or_b32 exec_lo, exec_lo, s15
.LBB6_315:                              ;   in Loop: Header=BB6_268 Depth=4
	s_or_b32 exec_lo, exec_lo, s14
	s_trap 2
	ds_read_b32 v9, v0
	v_and_b32_e32 v27, 0x4000, v87
	s_xor_b32 s14, s10, -1
	v_cmp_ne_u32_e32 vcc_lo, 0, v27
	s_and_b32 s15, s14, vcc_lo
	s_and_saveexec_b32 s14, s15
	s_cbranch_execz .LBB6_334
; %bb.316:                              ;   in Loop: Header=BB6_268 Depth=4
	s_and_saveexec_b32 s15, s24
	s_xor_b32 s15, exec_lo, s15
	s_cbranch_execz .LBB6_331
; %bb.317:                              ;   in Loop: Header=BB6_268 Depth=4
	s_and_saveexec_b32 s47, s7
	s_cbranch_execz .LBB6_330
; %bb.318:                              ;   in Loop: Header=BB6_268 Depth=4
	s_mov_b32 s57, exec_lo
	s_mov_b32 s56, exec_lo
	v_mbcnt_lo_u32_b32 v27, s57, 0
	s_waitcnt vmcnt(0) lgkmcnt(0)
	s_waitcnt_vscnt null, 0x0
	buffer_gl1_inv
	buffer_gl0_inv
	v_cmpx_eq_u32_e32 0, v27
	s_cbranch_execz .LBB6_320
; %bb.319:                              ;   in Loop: Header=BB6_268 Depth=4
	s_bcnt1_i32_b32 s57, s57
	v_mov_b32_e32 v53, v26
	v_mov_b32_e32 v52, s57
	ds_add_u64 v0, v[52:53]
	s_trap 2
.LBB6_320:                              ;   in Loop: Header=BB6_268 Depth=4
	s_or_b32 exec_lo, exec_lo, s56
	s_trap 2
	ds_read_b64 v[52:53], v0
	s_waitcnt lgkmcnt(0)
	buffer_gl0_inv
	v_add_co_u32 v10, vcc_lo, v10, v97
	v_add_co_ci_u32_e64 v11, null, 0, v11, vcc_lo
	s_mov_b32 s56, exec_lo
	v_cmpx_lt_u64_e64 v[52:53], v[10:11]
	s_cbranch_execz .LBB6_329
; %bb.321:                              ;   in Loop: Header=BB6_268 Depth=4
	s_mov_b32 s57, 0
	s_mov_b32 s60, 0
                                        ; implicit-def: $sgpr58
                                        ; implicit-def: $sgpr59
	s_inst_prefetch 0x1
	s_branch .LBB6_323
	.p2align	6
.LBB6_322:                              ;   in Loop: Header=BB6_323 Depth=5
	s_or_b32 exec_lo, exec_lo, s62
	s_and_b32 s61, exec_lo, s63
	s_or_b32 s57, s61, s57
	s_andn2_b32 s58, s58, exec_lo
	s_and_b32 s61, s59, exec_lo
	s_or_b32 s58, s58, s61
	s_andn2_b32 exec_lo, exec_lo, s57
	s_cbranch_execz .LBB6_327
.LBB6_323:                              ;   Parent Loop BB6_53 Depth=1
                                        ;     Parent Loop BB6_89 Depth=2
                                        ;       Parent Loop BB6_265 Depth=3
                                        ;         Parent Loop BB6_268 Depth=4
                                        ; =>        This Inner Loop Header: Depth=5
	s_add_i32 s60, s60, 1
	s_cmpk_lg_i32 s60, 0x2710
	s_cselect_b32 s61, -1, 0
	s_and_b32 vcc_lo, exec_lo, s61
	s_cbranch_vccz .LBB6_325
; %bb.324:                              ;   in Loop: Header=BB6_323 Depth=5
	s_mov_b32 s63, -1
	s_or_b32 s59, s59, exec_lo
	s_and_saveexec_b32 s62, s61
	s_cbranch_execz .LBB6_322
	s_branch .LBB6_326
	.p2align	6
.LBB6_325:                              ;   in Loop: Header=BB6_323 Depth=5
	s_trap 2
	ds_read_b64 v[52:53], v0
	s_andn2_b32 s61, s61, exec_lo
	s_mov_b32 s60, 0
	s_waitcnt lgkmcnt(0)
	flat_load_dword v27, v[52:53] glc dlc
	s_waitcnt vmcnt(0) lgkmcnt(0)
	buffer_gl1_inv
	buffer_gl0_inv
	v_cmp_eq_u32_e32 vcc_lo, 0, v27
	s_and_b32 s62, vcc_lo, exec_lo
	s_or_b32 s61, s61, s62
	s_mov_b32 s63, -1
	s_or_b32 s59, s59, exec_lo
	s_and_saveexec_b32 s62, s61
	s_cbranch_execz .LBB6_322
.LBB6_326:                              ;   in Loop: Header=BB6_323 Depth=5
	s_sleep 1
	s_trap 2
	ds_read_b64 v[52:53], v0
	s_waitcnt lgkmcnt(0)
	buffer_gl0_inv
	s_andn2_b32 s59, s59, exec_lo
	v_cmp_ge_u64_e32 vcc_lo, v[52:53], v[10:11]
	s_orn2_b32 s63, vcc_lo, exec_lo
	s_branch .LBB6_322
.LBB6_327:                              ;   in Loop: Header=BB6_268 Depth=4
	s_inst_prefetch 0x2
	s_or_b32 exec_lo, exec_lo, s57
	s_and_saveexec_b32 s57, s58
	s_xor_b32 s57, exec_lo, s57
	s_cbranch_execz .LBB6_329
; %bb.328:                              ;   in Loop: Header=BB6_268 Depth=4
	ds_write_b32 v0, v116
	s_trap 2
.LBB6_329:                              ;   in Loop: Header=BB6_268 Depth=4
	s_or_b32 exec_lo, exec_lo, s56
	;;#ASMSTART
	s_wakeup
	;;#ASMEND
.LBB6_330:                              ;   in Loop: Header=BB6_268 Depth=4
	s_or_b32 exec_lo, exec_lo, s47
.LBB6_331:                              ;   in Loop: Header=BB6_268 Depth=4
	s_andn2_saveexec_b32 s15, s15
	s_cbranch_execz .LBB6_333
; %bb.332:                              ;   in Loop: Header=BB6_268 Depth=4
	s_waitcnt vmcnt(0) lgkmcnt(0)
	s_waitcnt_vscnt null, 0x0
	buffer_gl1_inv
	buffer_gl0_inv
	s_barrier
.LBB6_333:                              ;   in Loop: Header=BB6_268 Depth=4
	s_or_b32 exec_lo, exec_lo, s15
.LBB6_334:                              ;   in Loop: Header=BB6_268 Depth=4
	s_or_b32 exec_lo, exec_lo, s14
	s_trap 2
	ds_read_b64 v[52:53], v0
	s_waitcnt lgkmcnt(0)
	v_cmp_eq_u64_e32 vcc_lo, 0, v[52:53]
	s_cbranch_vccnz .LBB6_342
; %bb.335:                              ;   in Loop: Header=BB6_268 Depth=4
	s_trap 2
	ds_read_b64 v[54:55], v0
	s_waitcnt lgkmcnt(0)
	v_cmp_eq_u64_e32 vcc_lo, 0, v[54:55]
	s_cbranch_vccnz .LBB6_342
; %bb.336:                              ;   in Loop: Header=BB6_268 Depth=4
	s_mov_b32 s14, -1
	s_and_saveexec_b32 s15, s11
	s_cbranch_execz .LBB6_338
; %bb.337:                              ;   in Loop: Header=BB6_268 Depth=4
	ds_read_b32 v27, v0 offset:720
	s_waitcnt lgkmcnt(0)
	v_and_b32_e32 v27, 15, v27
	v_cmp_eq_u32_e32 vcc_lo, 0, v27
	s_orn2_b32 s14, vcc_lo, exec_lo
.LBB6_338:                              ;   in Loop: Header=BB6_268 Depth=4
	s_or_b32 exec_lo, exec_lo, s15
	s_and_saveexec_b32 s15, s11
	s_cbranch_execz .LBB6_340
; %bb.339:                              ;   in Loop: Header=BB6_268 Depth=4
	ds_read_b32 v27, v0 offset:784
	s_waitcnt lgkmcnt(0)
	v_and_b32_e32 v27, 15, v27
	v_cmp_eq_u32_e32 vcc_lo, 0, v27
	s_and_b32 s47, s14, vcc_lo
	s_andn2_b32 s14, s14, exec_lo
	s_and_b32 s47, s47, exec_lo
	s_or_b32 s14, s14, s47
.LBB6_340:                              ;   in Loop: Header=BB6_268 Depth=4
	s_or_b32 exec_lo, exec_lo, s15
	v_cmp_eq_u32_e32 vcc_lo, 0, v9
	s_xor_b32 s14, s14, -1
	v_mov_b32_e32 v65, v0
	v_cndmask_b32_e64 v27, 0, 1, s14
	v_mov_b32_e32 v82, v28
	v_cndmask_b32_e32 v9, 0, v8, vcc_lo
	s_mov_b32 s14, -1
	v_cmp_ne_u32_e32 vcc_lo, 0, v27
	v_mov_b32_e32 v27, 0
	v_mov_b32_e32 v64, v9
	s_cbranch_vccz .LBB6_343
; %bb.341:                              ;   in Loop: Header=BB6_268 Depth=4
	s_and_saveexec_b32 s15, s14
	s_cbranch_execnz .LBB6_356
	s_branch .LBB6_364
.LBB6_342:                              ;   in Loop: Header=BB6_268 Depth=4
	s_mov_b32 s14, 0
	s_and_saveexec_b32 s15, s5
	s_cbranch_execnz .LBB6_365
	s_branch .LBB6_383
.LBB6_343:                              ;   in Loop: Header=BB6_268 Depth=4
	v_ashrrev_i32_e32 v27, 31, v9
	s_mov_b32 s15, exec_lo
	v_lshrrev_b32_e32 v27, 20, v27
	v_add_nc_u32_e32 v27, v9, v27
	v_ashrrev_i32_e32 v27, 12, v27
	v_sub_nc_u32_e32 v71, v27, v28
	v_cmpx_lt_i32_e32 0, v71
	s_cbranch_execz .LBB6_347
; %bb.344:                              ;   in Loop: Header=BB6_268 Depth=4
	v_mov_b32_e32 v65, v55
	v_mov_b32_e32 v67, v53
	;; [unrolled: 1-line block ×4, first 2 shown]
	s_mov_b32 s47, 0
.LBB6_345:                              ;   Parent Loop BB6_53 Depth=1
                                        ;     Parent Loop BB6_89 Depth=2
                                        ;       Parent Loop BB6_265 Depth=3
                                        ;         Parent Loop BB6_268 Depth=4
                                        ; =>        This Inner Loop Header: Depth=5
	v_add_co_u32 v46, vcc_lo, v100, v66
	v_add_co_ci_u32_e64 v47, null, v101, v67, vcc_lo
	v_sub_nc_u32_e32 v71, v71, v97
	v_add_co_u32 v92, vcc_lo, 0x800, v46
	v_add_co_ci_u32_e64 v93, null, 0, v47, vcc_lo
	s_clause 0x3
	global_load_dwordx4 v[80:83], v[46:47], off slc
	global_load_dwordx4 v[42:45], v[46:47], off offset:512 slc
	global_load_dwordx4 v[56:59], v[46:47], off offset:1024 slc
	global_load_dwordx4 v[60:63], v[46:47], off offset:1536 slc
	s_clause 0x3
	global_load_dwordx4 v[72:75], v[92:93], off slc
	global_load_dwordx4 v[76:79], v[92:93], off offset:512 slc
	global_load_dwordx4 v[88:91], v[92:93], off offset:1024 slc
	;; [unrolled: 1-line block ×3, first 2 shown]
	v_add_co_u32 v46, vcc_lo, v100, v64
	v_add_co_ci_u32_e64 v47, null, v101, v65, vcc_lo
	v_add_co_u32 v66, vcc_lo, v66, v98
	v_add_co_ci_u32_e64 v67, null, 0, v67, vcc_lo
	;; [unrolled: 2-line block ×3, first 2 shown]
	v_cmp_gt_i32_e32 vcc_lo, 1, v71
	v_add_co_u32 v104, s14, 0x800, v46
	v_add_co_ci_u32_e64 v105, null, 0, v47, s14
	s_or_b32 s47, vcc_lo, s47
	s_waitcnt vmcnt(7)
	global_store_dwordx4 v[46:47], v[80:83], off glc slc
	s_waitcnt vmcnt(6)
	global_store_dwordx4 v[46:47], v[42:45], off offset:512 glc slc
	s_waitcnt vmcnt(5)
	global_store_dwordx4 v[46:47], v[56:59], off offset:1024 glc slc
	;; [unrolled: 2-line block ×3, first 2 shown]
	s_waitcnt vmcnt(3)
	global_store_dwordx4 v[104:105], v[72:75], off glc slc
	s_waitcnt vmcnt(2)
	global_store_dwordx4 v[104:105], v[76:79], off offset:512 glc slc
	s_waitcnt vmcnt(1)
	global_store_dwordx4 v[104:105], v[88:91], off offset:1024 glc slc
	;; [unrolled: 2-line block ×3, first 2 shown]
	s_andn2_b32 exec_lo, exec_lo, s47
	s_cbranch_execnz .LBB6_345
; %bb.346:                              ;   in Loop: Header=BB6_268 Depth=4
	s_or_b32 exec_lo, exec_lo, s47
.LBB6_347:                              ;   in Loop: Header=BB6_268 Depth=4
	s_or_b32 exec_lo, exec_lo, s15
	v_lshlrev_b32_e32 v66, 12, v27
	v_mov_b32_e32 v27, 0
	s_mov_b32 s14, 0
	s_mov_b32 s47, exec_lo
                                        ; implicit-def: $vgpr64
                                        ; implicit-def: $vgpr65
                                        ; implicit-def: $vgpr82
	v_cmpx_ne_u32_e64 v9, v66
	s_cbranch_execz .LBB6_355
; %bb.348:                              ;   in Loop: Header=BB6_268 Depth=4
	v_lshlrev_b32_e32 v27, 5, v71
	v_sub_nc_u32_e32 v65, v9, v66
	s_mov_b32 s56, exec_lo
	v_sub_nc_u32_e32 v27, v99, v27
	v_ashrrev_i32_e32 v67, 31, v65
	v_ashrrev_i32_e32 v64, 31, v27
	v_lshrrev_b32_e32 v67, 23, v67
	v_lshrrev_b32_e32 v64, 27, v64
	v_add_nc_u32_e32 v81, v65, v67
	v_add_nc_u32_e32 v64, v27, v64
	v_and_b32_e32 v67, 0xfffffe00, v81
	v_ashrrev_i32_e32 v81, 9, v81
	v_and_b32_e32 v71, 0xffffffe0, v64
	v_sub_nc_u32_e32 v80, v65, v67
	v_ashrrev_i32_e32 v82, 5, v64
	v_sub_nc_u32_e32 v71, v27, v71
	v_cmp_lt_i32_e32 vcc_lo, 15, v80
	v_lshlrev_b32_e32 v27, 4, v71
	v_add_co_ci_u32_e64 v81, null, 0, v81, vcc_lo
	v_lshl_add_u32 v64, v82, 9, v27
	v_sub_nc_u32_e32 v81, v81, v82
	v_sub_nc_u32_e32 v27, v65, v64
	v_cmpx_lt_i32_e32 15, v27
	s_cbranch_execz .LBB6_352
; %bb.349:                              ;   in Loop: Header=BB6_268 Depth=4
	v_add_nc_u32_e32 v64, v64, v66
	s_mov_b32 s57, 0
	v_ashrrev_i32_e32 v65, 31, v64
	.p2align	6
.LBB6_350:                              ;   Parent Loop BB6_53 Depth=1
                                        ;     Parent Loop BB6_89 Depth=2
                                        ;       Parent Loop BB6_265 Depth=3
                                        ;         Parent Loop BB6_268 Depth=4
                                        ; =>        This Inner Loop Header: Depth=5
	v_add_co_u32 v82, s14, v52, v64
	v_add_co_ci_u32_e64 v83, null, v53, v65, s14
	v_sub_nc_u32_e32 v27, v27, v102
	v_sub_nc_u32_e32 v81, v81, v97
	global_load_dwordx4 v[42:45], v[82:83], off slc
	v_add_co_u32 v82, s14, v54, v64
	v_add_co_ci_u32_e64 v83, null, v55, v65, s14
	v_cmp_gt_i32_e64 s14, 16, v27
	v_add_co_u32 v64, s15, v64, v102
	v_add_co_ci_u32_e64 v65, null, 0, v65, s15
	s_or_b32 s57, s14, s57
	s_waitcnt vmcnt(0)
	global_store_dwordx4 v[82:83], v[42:45], off glc slc
	s_andn2_b32 exec_lo, exec_lo, s57
	s_cbranch_execnz .LBB6_350
; %bb.351:                              ;   in Loop: Header=BB6_268 Depth=4
	s_or_b32 exec_lo, exec_lo, s57
.LBB6_352:                              ;   in Loop: Header=BB6_268 Depth=4
	s_or_b32 exec_lo, exec_lo, s56
	v_and_b32_e32 v83, 15, v9
	v_mov_b32_e32 v27, 0
	s_mov_b32 s15, 0
	s_mov_b32 s56, exec_lo
                                        ; implicit-def: $vgpr65
                                        ; implicit-def: $vgpr82
	v_cndmask_b32_e32 v64, v80, v83, vcc_lo
	v_cmpx_ne_u32_e32 0, v64
	s_cbranch_execz .LBB6_354
; %bb.353:                              ;   in Loop: Header=BB6_268 Depth=4
	v_cmp_lt_i32_e64 s14, 0, v81
	s_mov_b32 s15, exec_lo
	v_cndmask_b32_e64 v27, 0, v97, s14
	v_sub_nc_u32_e32 v27, v27, v81
	v_lshl_add_u32 v65, v27, 5, v71
	v_sub_nc_u32_e32 v71, v80, v83
	v_ashrrev_i32_e32 v27, 31, v65
	v_cndmask_b32_e32 v71, 0, v71, vcc_lo
	v_lshrrev_b32_e32 v27, 27, v27
	v_add_nc_u32_e32 v80, v65, v27
	v_add3_u32 v27, v67, v66, v71
	v_ashrrev_i32_e32 v82, 5, v80
.LBB6_354:                              ;   in Loop: Header=BB6_268 Depth=4
	s_or_b32 exec_lo, exec_lo, s56
	s_and_b32 s14, s15, exec_lo
.LBB6_355:                              ;   in Loop: Header=BB6_268 Depth=4
	s_or_b32 exec_lo, exec_lo, s47
	s_and_saveexec_b32 s15, s14
	s_cbranch_execz .LBB6_364
.LBB6_356:                              ;   in Loop: Header=BB6_268 Depth=4
	v_ashrrev_i32_e32 v66, 31, v64
	v_ashrrev_i32_e32 v67, 31, v65
	s_mov_b32 s14, exec_lo
	v_lshrrev_b32_e32 v66, 22, v66
	v_lshrrev_b32_e32 v67, 27, v67
	v_add_nc_u32_e32 v66, v64, v66
	v_ashrrev_i32_e32 v71, 10, v66
	v_sub_nc_u32_e32 v66, v71, v82
	v_cmpx_lt_i32_e32 0, v66
	s_cbranch_execz .LBB6_360
; %bb.357:                              ;   in Loop: Header=BB6_268 Depth=4
	v_add_nc_u32_e32 v80, v65, v67
	v_lshlrev_b32_e32 v81, 10, v82
	s_mov_b32 s47, 0
	v_and_b32_e32 v80, 0xffffffe0, v80
	v_sub_nc_u32_e32 v80, v65, v80
	v_add3_u32 v80, v27, v80, v81
	v_ashrrev_i32_e32 v81, 31, v80
.LBB6_358:                              ;   Parent Loop BB6_53 Depth=1
                                        ;     Parent Loop BB6_89 Depth=2
                                        ;       Parent Loop BB6_265 Depth=3
                                        ;         Parent Loop BB6_268 Depth=4
                                        ; =>        This Inner Loop Header: Depth=5
	v_add_co_u32 v82, vcc_lo, v80, v52
	v_add_co_ci_u32_e64 v83, null, v81, v53, vcc_lo
	v_sub_nc_u32_e32 v66, v66, v97
	s_clause 0x1f
	flat_load_ubyte v84, v[82:83] slc
	flat_load_ubyte v42, v[82:83] offset:32 slc
	flat_load_ubyte v43, v[82:83] offset:64 slc
	;; [unrolled: 1-line block ×31, first 2 shown]
	v_add_co_u32 v82, vcc_lo, v80, v54
	v_add_co_ci_u32_e64 v83, null, v81, v55, vcc_lo
	v_add_co_u32 v52, vcc_lo, v52, v103
	v_add_co_ci_u32_e64 v53, null, 0, v53, vcc_lo
	;; [unrolled: 2-line block ×3, first 2 shown]
	v_cmp_gt_i32_e32 vcc_lo, 1, v66
	s_waitcnt vmcnt(31) lgkmcnt(31)
	flat_store_byte v[82:83], v84 glc slc
	s_waitcnt vmcnt(30) lgkmcnt(31)
	flat_store_byte v[82:83], v42 offset:32 glc slc
	s_waitcnt vmcnt(29) lgkmcnt(31)
	flat_store_byte v[82:83], v43 offset:64 glc slc
	;; [unrolled: 2-line block ×31, first 2 shown]
	s_or_b32 s47, vcc_lo, s47
	s_andn2_b32 exec_lo, exec_lo, s47
	s_cbranch_execnz .LBB6_358
; %bb.359:                              ;   in Loop: Header=BB6_268 Depth=4
	s_or_b32 exec_lo, exec_lo, s47
.LBB6_360:                              ;   in Loop: Header=BB6_268 Depth=4
	s_or_b32 exec_lo, exec_lo, s14
	v_lshlrev_b32_e32 v52, 10, v71
	v_cmp_ne_u32_e32 vcc_lo, v64, v52
	s_and_b32 exec_lo, exec_lo, vcc_lo
	s_cbranch_execz .LBB6_364
; %bb.361:                              ;   in Loop: Header=BB6_268 Depth=4
	v_add_nc_u32_e32 v53, v65, v67
	v_lshlrev_b32_e32 v54, 5, v66
	v_and_b32_e32 v53, 0xffffffe0, v53
	v_sub_nc_u32_e32 v53, v65, v53
	v_sub_nc_u32_e32 v53, v53, v54
	v_add_nc_u32_e32 v55, v52, v53
	v_sub_nc_u32_e32 v54, v64, v55
	v_cmp_lt_i32_e32 vcc_lo, 0, v54
	s_and_b32 exec_lo, exec_lo, vcc_lo
	s_cbranch_execz .LBB6_364
; %bb.362:                              ;   in Loop: Header=BB6_268 Depth=4
	s_trap 2
	ds_read_b64 v[52:53], v0
	v_add_nc_u32_e32 v27, v55, v27
	s_mov_b32 s47, 0
	v_ashrrev_i32_e32 v55, 31, v27
	.p2align	6
.LBB6_363:                              ;   Parent Loop BB6_53 Depth=1
                                        ;     Parent Loop BB6_89 Depth=2
                                        ;       Parent Loop BB6_265 Depth=3
                                        ;         Parent Loop BB6_268 Depth=4
                                        ; =>        This Inner Loop Header: Depth=5
	s_waitcnt lgkmcnt(0)
	v_add_co_u32 v64, vcc_lo, v52, v27
	v_add_co_ci_u32_e64 v65, null, v53, v55, vcc_lo
	v_sub_nc_u32_e32 v54, v54, v112
	v_add_co_u32 v27, s14, v27, v112
	flat_load_ubyte v66, v[64:65] slc
	v_add_co_ci_u32_e64 v55, null, 0, v55, s14
	v_cmp_gt_i32_e32 vcc_lo, 1, v54
	s_or_b32 s47, vcc_lo, s47
	s_waitcnt vmcnt(0) lgkmcnt(0)
	flat_store_byte v[64:65], v66 glc slc
	s_andn2_b32 exec_lo, exec_lo, s47
	s_cbranch_execnz .LBB6_363
.LBB6_364:                              ;   in Loop: Header=BB6_268 Depth=4
	s_or_b32 exec_lo, exec_lo, s15
	v_cmp_lt_i32_e64 s14, 0, v9
	s_and_saveexec_b32 s15, s5
	s_cbranch_execz .LBB6_383
.LBB6_365:                              ;   in Loop: Header=BB6_268 Depth=4
	s_and_saveexec_b32 s47, s24
	s_xor_b32 s47, exec_lo, s47
	s_cbranch_execz .LBB6_380
; %bb.366:                              ;   in Loop: Header=BB6_268 Depth=4
	s_and_saveexec_b32 s56, s7
	s_cbranch_execz .LBB6_379
; %bb.367:                              ;   in Loop: Header=BB6_268 Depth=4
	s_mov_b32 s58, exec_lo
	s_mov_b32 s57, exec_lo
	v_mbcnt_lo_u32_b32 v9, s58, 0
	s_waitcnt vmcnt(0) lgkmcnt(0)
	s_waitcnt_vscnt null, 0x0
	buffer_gl1_inv
	buffer_gl0_inv
	v_cmpx_eq_u32_e32 0, v9
	s_cbranch_execz .LBB6_369
; %bb.368:                              ;   in Loop: Header=BB6_268 Depth=4
	s_bcnt1_i32_b32 s58, s58
	v_mov_b32_e32 v53, v26
	v_mov_b32_e32 v52, s58
	ds_add_u64 v0, v[52:53]
	s_trap 2
.LBB6_369:                              ;   in Loop: Header=BB6_268 Depth=4
	s_or_b32 exec_lo, exec_lo, s57
	s_trap 2
	ds_read_b64 v[52:53], v0
	s_waitcnt lgkmcnt(0)
	buffer_gl0_inv
	v_add_co_u32 v10, vcc_lo, v10, v97
	v_add_co_ci_u32_e64 v11, null, 0, v11, vcc_lo
	s_mov_b32 s57, exec_lo
	v_cmpx_lt_u64_e64 v[52:53], v[10:11]
	s_cbranch_execz .LBB6_378
; %bb.370:                              ;   in Loop: Header=BB6_268 Depth=4
	s_mov_b32 s58, 0
	s_mov_b32 s61, 0
                                        ; implicit-def: $sgpr59
                                        ; implicit-def: $sgpr60
	s_inst_prefetch 0x1
	s_branch .LBB6_372
	.p2align	6
.LBB6_371:                              ;   in Loop: Header=BB6_372 Depth=5
	s_or_b32 exec_lo, exec_lo, s63
	s_and_b32 s62, exec_lo, s72
	s_or_b32 s58, s62, s58
	s_andn2_b32 s59, s59, exec_lo
	s_and_b32 s62, s60, exec_lo
	s_or_b32 s59, s59, s62
	s_andn2_b32 exec_lo, exec_lo, s58
	s_cbranch_execz .LBB6_376
.LBB6_372:                              ;   Parent Loop BB6_53 Depth=1
                                        ;     Parent Loop BB6_89 Depth=2
                                        ;       Parent Loop BB6_265 Depth=3
                                        ;         Parent Loop BB6_268 Depth=4
                                        ; =>        This Inner Loop Header: Depth=5
	s_add_i32 s61, s61, 1
	s_cmpk_lg_i32 s61, 0x2710
	s_cselect_b32 s62, -1, 0
	s_and_b32 vcc_lo, exec_lo, s62
	s_cbranch_vccz .LBB6_374
; %bb.373:                              ;   in Loop: Header=BB6_372 Depth=5
	s_mov_b32 s72, -1
	s_or_b32 s60, s60, exec_lo
	s_and_saveexec_b32 s63, s62
	s_cbranch_execz .LBB6_371
	s_branch .LBB6_375
	.p2align	6
.LBB6_374:                              ;   in Loop: Header=BB6_372 Depth=5
	s_trap 2
	ds_read_b64 v[52:53], v0
	s_andn2_b32 s62, s62, exec_lo
	s_mov_b32 s61, 0
	s_waitcnt lgkmcnt(0)
	flat_load_dword v9, v[52:53] glc dlc
	s_waitcnt vmcnt(0) lgkmcnt(0)
	buffer_gl1_inv
	buffer_gl0_inv
	v_cmp_eq_u32_e32 vcc_lo, 0, v9
	s_and_b32 s63, vcc_lo, exec_lo
	s_or_b32 s62, s62, s63
	s_mov_b32 s72, -1
	s_or_b32 s60, s60, exec_lo
	s_and_saveexec_b32 s63, s62
	s_cbranch_execz .LBB6_371
.LBB6_375:                              ;   in Loop: Header=BB6_372 Depth=5
	s_sleep 1
	s_trap 2
	ds_read_b64 v[52:53], v0
	s_waitcnt lgkmcnt(0)
	buffer_gl0_inv
	s_andn2_b32 s60, s60, exec_lo
	v_cmp_ge_u64_e32 vcc_lo, v[52:53], v[10:11]
	s_orn2_b32 s72, vcc_lo, exec_lo
	s_branch .LBB6_371
.LBB6_376:                              ;   in Loop: Header=BB6_268 Depth=4
	s_inst_prefetch 0x2
	s_or_b32 exec_lo, exec_lo, s58
	s_and_saveexec_b32 s58, s59
	s_xor_b32 s58, exec_lo, s58
	s_cbranch_execz .LBB6_378
; %bb.377:                              ;   in Loop: Header=BB6_268 Depth=4
	ds_write_b32 v0, v116
	s_trap 2
.LBB6_378:                              ;   in Loop: Header=BB6_268 Depth=4
	s_or_b32 exec_lo, exec_lo, s57
	;;#ASMSTART
	s_wakeup
	;;#ASMEND
.LBB6_379:                              ;   in Loop: Header=BB6_268 Depth=4
	s_or_b32 exec_lo, exec_lo, s56
.LBB6_380:                              ;   in Loop: Header=BB6_268 Depth=4
	s_andn2_saveexec_b32 s47, s47
	s_cbranch_execz .LBB6_382
; %bb.381:                              ;   in Loop: Header=BB6_268 Depth=4
	s_waitcnt vmcnt(0) lgkmcnt(0)
	s_waitcnt_vscnt null, 0x0
	buffer_gl1_inv
	buffer_gl0_inv
	s_barrier
.LBB6_382:                              ;   in Loop: Header=BB6_268 Depth=4
	s_or_b32 exec_lo, exec_lo, s47
.LBB6_383:                              ;   in Loop: Header=BB6_268 Depth=4
	s_or_b32 exec_lo, exec_lo, s15
	v_and_b32_e32 v9, 16, v87
	v_cmp_ne_u32_e32 vcc_lo, 0, v9
	s_and_b32 s15, vcc_lo, s14
	s_and_saveexec_b32 s14, s15
	s_cbranch_execz .LBB6_385
; %bb.384:                              ;   in Loop: Header=BB6_268 Depth=4
	s_waitcnt vmcnt(0) lgkmcnt(0)
	s_waitcnt_vscnt null, 0x0
	buffer_gl1_inv
	buffer_gl0_inv
.LBB6_385:                              ;   in Loop: Header=BB6_268 Depth=4
	s_or_b32 exec_lo, exec_lo, s14
	v_cmp_ne_u32_e32 vcc_lo, 0, v9
	s_xor_b32 s14, s12, -1
	s_and_b32 s15, vcc_lo, s14
	s_and_saveexec_b32 s14, s15
	s_cbranch_execz .LBB6_387
; %bb.386:                              ;   in Loop: Header=BB6_268 Depth=4
	s_waitcnt vmcnt(0) lgkmcnt(0)
	s_waitcnt_vscnt null, 0x0
	flat_store_dword v[20:21], v116
.LBB6_387:                              ;   in Loop: Header=BB6_268 Depth=4
	s_or_b32 exec_lo, exec_lo, s14
	v_and_b32_e32 v9, 48, v87
	s_mov_b32 s14, exec_lo
	v_cmpx_ne_u32_e32 0, v9
	s_cbranch_execz .LBB6_267
; %bb.388:                              ;   in Loop: Header=BB6_268 Depth=4
	v_add_co_u32 v48, vcc_lo, v48, 2
	v_add_co_ci_u32_e64 v49, null, 0, v49, vcc_lo
	s_waitcnt vmcnt(0) lgkmcnt(0)
	s_waitcnt_vscnt null, 0x0
	flat_store_dwordx2 v[16:17], v[48:49]
	s_branch .LBB6_267
.LBB6_389:                              ;   in Loop: Header=BB6_265 Depth=3
	s_or_b32 exec_lo, exec_lo, s44
.LBB6_390:                              ;   in Loop: Header=BB6_265 Depth=3
	s_or_b32 exec_lo, exec_lo, s43
	s_mov_b32 s15, exec_lo
	v_cmpx_gt_i32_e32 2, v9
	s_cbranch_execz .LBB6_264
; %bb.391:                              ;   in Loop: Header=BB6_265 Depth=3
	v_cmp_eq_u32_e64 s44, 0, v9
	s_mov_b32 s43, 0
	s_branch .LBB6_393
.LBB6_392:                              ;   in Loop: Header=BB6_393 Depth=4
	s_or_b32 exec_lo, exec_lo, s14
	v_add_nc_u32_e32 v70, v8, v70
	s_mov_b32 s44, 0
	s_andn2_b32 exec_lo, exec_lo, s43
	s_cbranch_execz .LBB6_263
.LBB6_393:                              ;   Parent Loop BB6_53 Depth=1
                                        ;     Parent Loop BB6_89 Depth=2
                                        ;       Parent Loop BB6_265 Depth=3
                                        ; =>      This Loop Header: Depth=4
                                        ;           Child Loop BB6_399 Depth 5
                                        ;           Child Loop BB6_427 Depth 5
	v_sub_nc_u32_e32 v9, v68, v70
	v_and_b32_e32 v27, 12, v87
	s_mov_b32 s45, exec_lo
	v_min_i32_e32 v8, v8, v9
	v_cmpx_ne_u32_e32 0, v27
	s_cbranch_execz .LBB6_419
; %bb.394:                              ;   in Loop: Header=BB6_393 Depth=4
	v_and_b32_e32 v27, 8, v87
	s_mov_b32 s46, exec_lo
	s_waitcnt vmcnt(0)
	v_add_co_u32 v54, vcc_lo, v22, v27
	v_add_co_ci_u32_e64 v55, null, 0, v23, vcc_lo
	v_add_co_u32 v52, vcc_lo, v48, 2
	v_add_co_ci_u32_e64 v53, null, 0, v49, vcc_lo
	v_cmpx_lt_u64_e64 v[54:55], v[52:53]
	s_cbranch_execz .LBB6_406
; %bb.395:                              ;   in Loop: Header=BB6_393 Depth=4
	v_and_b32_e32 v9, 64, v87
	s_mov_b32 s47, 0
	s_mov_b32 s59, 0
                                        ; implicit-def: $sgpr56
                                        ; implicit-def: $sgpr57
                                        ; implicit-def: $sgpr58
	v_cmp_eq_u32_e32 vcc_lo, 0, v9
	s_branch .LBB6_399
.LBB6_396:                              ;   in Loop: Header=BB6_399 Depth=5
	s_waitcnt vmcnt(0) lgkmcnt(0)
	v_add_co_u32 v54, s14, v22, v27
	v_add_co_ci_u32_e64 v55, null, 0, v23, s14
	s_or_b32 s62, s62, exec_lo
	v_cmp_ge_u64_e64 s14, v[54:55], v[52:53]
	s_orn2_b32 s61, s14, exec_lo
.LBB6_397:                              ;   in Loop: Header=BB6_399 Depth=5
	s_or_b32 exec_lo, exec_lo, s72
	s_andn2_b32 s14, s58, exec_lo
	s_and_b32 s58, s62, exec_lo
	s_andn2_b32 s57, s57, exec_lo
	s_and_b32 s61, s61, exec_lo
	s_or_b32 s58, s14, s58
	s_or_b32 s57, s57, s61
.LBB6_398:                              ;   in Loop: Header=BB6_399 Depth=5
	s_or_b32 exec_lo, exec_lo, s60
	s_and_b32 s14, exec_lo, s57
	s_or_b32 s47, s14, s47
	s_andn2_b32 s14, s56, exec_lo
	s_and_b32 s56, s58, exec_lo
	s_or_b32 s56, s14, s56
	s_andn2_b32 exec_lo, exec_lo, s47
	s_cbranch_execz .LBB6_403
.LBB6_399:                              ;   Parent Loop BB6_53 Depth=1
                                        ;     Parent Loop BB6_89 Depth=2
                                        ;       Parent Loop BB6_265 Depth=3
                                        ;         Parent Loop BB6_393 Depth=4
                                        ; =>        This Inner Loop Header: Depth=5
	s_sleep 1
	s_waitcnt vmcnt(0) lgkmcnt(0)
	flat_load_dwordx2 v[22:23], v[16:17] glc dlc
	s_or_b32 s58, s58, exec_lo
	s_or_b32 s57, s57, exec_lo
                                        ; implicit-def: $vgpr9
	s_and_saveexec_b32 s60, vcc_lo
	s_cbranch_execz .LBB6_398
; %bb.400:                              ;   in Loop: Header=BB6_399 Depth=5
	s_cmpk_lt_i32 s59, 0x270f
	s_mov_b32 s61, -1
	s_cselect_b32 s63, -1, 0
	s_cmpk_gt_i32 s59, 0x270e
	s_cbranch_scc0 .LBB6_402
; %bb.401:                              ;   in Loop: Header=BB6_399 Depth=5
	s_trap 2
	ds_read_b64 v[54:55], v0
	s_andn2_b32 s59, s63, exec_lo
	s_mov_b32 s62, 0
	s_waitcnt vmcnt(0) lgkmcnt(0)
	s_waitcnt_vscnt null, 0x0
	flat_load_dword v9, v[54:55] glc dlc
	s_waitcnt vmcnt(0) lgkmcnt(0)
	buffer_gl1_inv
	buffer_gl0_inv
	v_cmp_eq_u32_e64 s14, 0, v9
	s_and_b32 s14, s14, exec_lo
	s_or_b32 s63, s59, s14
	s_mov_b32 s59, 0
	s_and_saveexec_b32 s72, s63
	s_cbranch_execz .LBB6_397
	s_branch .LBB6_396
.LBB6_402:                              ;   in Loop: Header=BB6_399 Depth=5
	s_add_i32 s59, s59, 1
	s_mov_b32 s62, -1
                                        ; implicit-def: $vgpr9
	s_and_saveexec_b32 s72, s63
	s_cbranch_execz .LBB6_397
	s_branch .LBB6_396
.LBB6_403:                              ;   in Loop: Header=BB6_393 Depth=4
	s_or_b32 exec_lo, exec_lo, s47
	s_xor_b32 s14, s56, -1
	s_and_saveexec_b32 s47, s14
	s_xor_b32 s14, exec_lo, s47
	s_cbranch_execz .LBB6_405
; %bb.404:                              ;   in Loop: Header=BB6_393 Depth=4
	v_or_b32_e32 v87, 64, v87
	s_waitcnt vmcnt(0) lgkmcnt(0)
	s_waitcnt_vscnt null, 0x0
	ds_write_b32 v0, v9
	s_trap 2
.LBB6_405:                              ;   in Loop: Header=BB6_393 Depth=4
	s_or_b32 exec_lo, exec_lo, s14
.LBB6_406:                              ;   in Loop: Header=BB6_393 Depth=4
	s_or_b32 exec_lo, exec_lo, s46
	v_and_b32_e32 v9, 0x108, v87
	v_and_b32_e32 v64, 7, v48
	s_mov_b32 s14, exec_lo
	;;#ASMSTART
	s_wakeup
	;;#ASMEND
	v_cmpx_ne_u32_e32 0x108, v9
	s_xor_b32 s14, exec_lo, s14
                                        ; implicit-def: $vgpr65
; %bb.407:                              ;   in Loop: Header=BB6_393 Depth=4
	v_mov_b32_e32 v65, v26
; %bb.408:                              ;   in Loop: Header=BB6_393 Depth=4
	s_andn2_saveexec_b32 s14, s14
	s_cbranch_execz .LBB6_410
; %bb.409:                              ;   in Loop: Header=BB6_393 Depth=4
	v_mad_u64_u32 v[48:49], null, v64, 24, v[4:5]
	v_ashrrev_i32_e32 v9, 31, v8
	v_mov_b32_e32 v65, v26
	flat_store_dwordx2 v[48:49], v[8:9] offset:8
.LBB6_410:                              ;   in Loop: Header=BB6_393 Depth=4
	s_or_b32 exec_lo, exec_lo, s14
	v_and_b32_e32 v9, 0x100, v87
	s_mov_b32 s14, -1
	s_mov_b32 s46, exec_lo
                                        ; implicit-def: $vgpr48_vgpr49
	v_cmpx_ne_u32_e32 0, v9
	s_cbranch_execz .LBB6_414
; %bb.411:                              ;   in Loop: Header=BB6_393 Depth=4
	v_mad_u64_u32 v[54:55], null, v64, 24, v[4:5]
	s_mov_b32 s47, exec_lo
	v_mov_b32_e32 v9, v55
	v_mad_u64_u32 v[48:49], null, v65, 24, v[9:10]
	v_mov_b32_e32 v55, v48
                                        ; implicit-def: $vgpr48_vgpr49
	flat_load_dword v9, v[54:55]
	s_waitcnt vmcnt(0) lgkmcnt(0)
	v_cmp_ne_u32_e32 vcc_lo, 1, v9
	v_cmpx_eq_u32_e32 1, v9
	s_cbranch_execz .LBB6_413
; %bb.412:                              ;   in Loop: Header=BB6_393 Depth=4
	flat_load_dword v48, v[54:55] offset:4 glc dlc
	s_waitcnt vmcnt(0) lgkmcnt(0)
	v_ashrrev_i32_e32 v49, 31, v48
.LBB6_413:                              ;   in Loop: Header=BB6_393 Depth=4
	s_or_b32 exec_lo, exec_lo, s47
	s_orn2_b32 s14, vcc_lo, exec_lo
.LBB6_414:                              ;   in Loop: Header=BB6_393 Depth=4
	s_or_b32 exec_lo, exec_lo, s46
	s_and_saveexec_b32 s46, s14
; %bb.415:                              ;   in Loop: Header=BB6_393 Depth=4
	v_mul_lo_u32 v9, v65, v96
	v_mul_lo_u32 v54, v64, v113
	v_mad_u64_u32 v[48:49], null, v64, v96, 0
	v_add3_u32 v49, v49, v54, v9
; %bb.416:                              ;   in Loop: Header=BB6_393 Depth=4
	s_or_b32 exec_lo, exec_lo, s46
	v_cmp_eq_u32_e32 vcc_lo, 0, v27
	v_and_b32_e32 v27, 0x2000, v87
	s_mov_b32 s14, exec_lo
	v_cndmask_b32_e32 v9, 0xc8, v117, vcc_lo
	v_add_co_u32 v48, vcc_lo, v18, v48
	v_add_co_ci_u32_e64 v49, null, v19, v49, vcc_lo
	v_add_nc_u32_e32 v9, v0, v9
	ds_write_b64 v9, v[48:49] offset:584
	v_cmpx_ne_u32_e32 0, v27
	s_cbranch_execz .LBB6_418
; %bb.417:                              ;   in Loop: Header=BB6_393 Depth=4
	ds_read_b64 v[48:49], v0 offset:872
	s_waitcnt lgkmcnt(0)
	v_add_co_u32 v48, vcc_lo, v48, 1
	v_add_co_ci_u32_e64 v49, null, 0, v49, vcc_lo
	ds_write_b64 v0, v[48:49] offset:872
.LBB6_418:                              ;   in Loop: Header=BB6_393 Depth=4
	s_or_b32 exec_lo, exec_lo, s14
	v_mov_b32_e32 v48, v52
	v_mov_b32_e32 v49, v53
.LBB6_419:                              ;   in Loop: Header=BB6_393 Depth=4
	s_or_b32 exec_lo, exec_lo, s45
	s_xor_b32 s14, s44, -1
	s_and_b32 s14, exec_lo, s14
	s_or_b32 s43, s14, s43
	s_and_saveexec_b32 s14, s5
	s_cbranch_execz .LBB6_438
; %bb.420:                              ;   in Loop: Header=BB6_393 Depth=4
	s_and_saveexec_b32 s44, s24
	s_xor_b32 s44, exec_lo, s44
	s_cbranch_execz .LBB6_435
; %bb.421:                              ;   in Loop: Header=BB6_393 Depth=4
	s_and_saveexec_b32 s45, s7
	s_cbranch_execz .LBB6_434
; %bb.422:                              ;   in Loop: Header=BB6_393 Depth=4
	s_mov_b32 s47, exec_lo
	s_mov_b32 s46, exec_lo
	v_mbcnt_lo_u32_b32 v9, s47, 0
	s_waitcnt vmcnt(0) lgkmcnt(0)
	s_waitcnt_vscnt null, 0x0
	buffer_gl1_inv
	buffer_gl0_inv
	v_cmpx_eq_u32_e32 0, v9
	s_cbranch_execz .LBB6_424
; %bb.423:                              ;   in Loop: Header=BB6_393 Depth=4
	s_bcnt1_i32_b32 s47, s47
	v_mov_b32_e32 v53, v26
	v_mov_b32_e32 v52, s47
	ds_add_u64 v0, v[52:53]
	s_trap 2
.LBB6_424:                              ;   in Loop: Header=BB6_393 Depth=4
	s_or_b32 exec_lo, exec_lo, s46
	s_trap 2
	ds_read_b64 v[52:53], v0
	s_waitcnt lgkmcnt(0)
	buffer_gl0_inv
	v_add_co_u32 v10, vcc_lo, v10, v97
	v_add_co_ci_u32_e64 v11, null, 0, v11, vcc_lo
	s_mov_b32 s46, exec_lo
	v_cmpx_lt_u64_e64 v[52:53], v[10:11]
	s_cbranch_execz .LBB6_433
; %bb.425:                              ;   in Loop: Header=BB6_393 Depth=4
	s_mov_b32 s47, 0
	s_mov_b32 s58, 0
                                        ; implicit-def: $sgpr56
                                        ; implicit-def: $sgpr57
	s_inst_prefetch 0x1
	s_branch .LBB6_427
	.p2align	6
.LBB6_426:                              ;   in Loop: Header=BB6_427 Depth=5
	s_or_b32 exec_lo, exec_lo, s60
	s_and_b32 s59, exec_lo, s61
	s_or_b32 s47, s59, s47
	s_andn2_b32 s56, s56, exec_lo
	s_and_b32 s59, s57, exec_lo
	s_or_b32 s56, s56, s59
	s_andn2_b32 exec_lo, exec_lo, s47
	s_cbranch_execz .LBB6_431
.LBB6_427:                              ;   Parent Loop BB6_53 Depth=1
                                        ;     Parent Loop BB6_89 Depth=2
                                        ;       Parent Loop BB6_265 Depth=3
                                        ;         Parent Loop BB6_393 Depth=4
                                        ; =>        This Inner Loop Header: Depth=5
	s_add_i32 s58, s58, 1
	s_cmpk_lg_i32 s58, 0x2710
	s_cselect_b32 s59, -1, 0
	s_and_b32 vcc_lo, exec_lo, s59
	s_cbranch_vccz .LBB6_429
; %bb.428:                              ;   in Loop: Header=BB6_427 Depth=5
	s_mov_b32 s61, -1
	s_or_b32 s57, s57, exec_lo
	s_and_saveexec_b32 s60, s59
	s_cbranch_execz .LBB6_426
	s_branch .LBB6_430
	.p2align	6
.LBB6_429:                              ;   in Loop: Header=BB6_427 Depth=5
	s_trap 2
	ds_read_b64 v[52:53], v0
	s_andn2_b32 s59, s59, exec_lo
	s_mov_b32 s58, 0
	s_waitcnt lgkmcnt(0)
	flat_load_dword v9, v[52:53] glc dlc
	s_waitcnt vmcnt(0) lgkmcnt(0)
	buffer_gl1_inv
	buffer_gl0_inv
	v_cmp_eq_u32_e32 vcc_lo, 0, v9
	s_and_b32 s60, vcc_lo, exec_lo
	s_or_b32 s59, s59, s60
	s_mov_b32 s61, -1
	s_or_b32 s57, s57, exec_lo
	s_and_saveexec_b32 s60, s59
	s_cbranch_execz .LBB6_426
.LBB6_430:                              ;   in Loop: Header=BB6_427 Depth=5
	s_sleep 1
	s_trap 2
	ds_read_b64 v[52:53], v0
	s_waitcnt lgkmcnt(0)
	buffer_gl0_inv
	s_andn2_b32 s57, s57, exec_lo
	v_cmp_ge_u64_e32 vcc_lo, v[52:53], v[10:11]
	s_orn2_b32 s61, vcc_lo, exec_lo
	s_branch .LBB6_426
.LBB6_431:                              ;   in Loop: Header=BB6_393 Depth=4
	s_inst_prefetch 0x2
	s_or_b32 exec_lo, exec_lo, s47
	s_and_saveexec_b32 s47, s56
	s_xor_b32 s47, exec_lo, s47
	s_cbranch_execz .LBB6_433
; %bb.432:                              ;   in Loop: Header=BB6_393 Depth=4
	ds_write_b32 v0, v116
	s_trap 2
.LBB6_433:                              ;   in Loop: Header=BB6_393 Depth=4
	s_or_b32 exec_lo, exec_lo, s46
	;;#ASMSTART
	s_wakeup
	;;#ASMEND
.LBB6_434:                              ;   in Loop: Header=BB6_393 Depth=4
	s_or_b32 exec_lo, exec_lo, s45
.LBB6_435:                              ;   in Loop: Header=BB6_393 Depth=4
	s_andn2_saveexec_b32 s44, s44
	s_cbranch_execz .LBB6_437
; %bb.436:                              ;   in Loop: Header=BB6_393 Depth=4
	s_waitcnt vmcnt(0) lgkmcnt(0)
	s_waitcnt_vscnt null, 0x0
	buffer_gl1_inv
	buffer_gl0_inv
	s_barrier
.LBB6_437:                              ;   in Loop: Header=BB6_393 Depth=4
	s_or_b32 exec_lo, exec_lo, s44
.LBB6_438:                              ;   in Loop: Header=BB6_393 Depth=4
	s_or_b32 exec_lo, exec_lo, s14
	s_trap 2
	ds_read_b32 v9, v0
	v_cmp_lt_i32_e32 vcc_lo, 0, v8
	s_waitcnt lgkmcnt(0)
	v_readfirstlane_b32 s14, v9
	v_and_b32_e32 v9, 16, v87
	s_cmp_eq_u32 s14, 0
	v_cmp_ne_u32_e64 s14, 0, v9
	s_cselect_b32 s44, -1, 0
	s_and_b32 s44, vcc_lo, s44
	s_and_b32 s44, s14, s44
	s_and_saveexec_b32 s14, s44
	s_cbranch_execz .LBB6_440
; %bb.439:                              ;   in Loop: Header=BB6_393 Depth=4
	s_waitcnt vmcnt(0)
	s_waitcnt_vscnt null, 0x0
	buffer_gl1_inv
	buffer_gl0_inv
.LBB6_440:                              ;   in Loop: Header=BB6_393 Depth=4
	s_or_b32 exec_lo, exec_lo, s14
	v_cmp_ne_u32_e32 vcc_lo, 0, v9
	s_xor_b32 s14, s12, -1
	s_and_b32 s44, vcc_lo, s14
	s_and_saveexec_b32 s14, s44
	s_cbranch_execz .LBB6_442
; %bb.441:                              ;   in Loop: Header=BB6_393 Depth=4
	s_waitcnt vmcnt(0)
	s_waitcnt_vscnt null, 0x0
	flat_store_dword v[20:21], v116
.LBB6_442:                              ;   in Loop: Header=BB6_393 Depth=4
	s_or_b32 exec_lo, exec_lo, s14
	v_and_b32_e32 v9, 48, v87
	s_mov_b32 s14, exec_lo
	v_cmpx_ne_u32_e32 0, v9
	s_cbranch_execz .LBB6_392
; %bb.443:                              ;   in Loop: Header=BB6_393 Depth=4
	v_add_co_u32 v48, vcc_lo, v48, 2
	v_add_co_ci_u32_e64 v49, null, 0, v49, vcc_lo
	s_waitcnt vmcnt(0) lgkmcnt(0)
	s_waitcnt_vscnt null, 0x0
	flat_store_dwordx2 v[16:17], v[48:49]
	s_branch .LBB6_392
.LBB6_444:                              ;   in Loop: Header=BB6_89 Depth=2
	v_add_co_u32 v68, vcc_lo, v6, v40
	v_add_co_ci_u32_e64 v69, null, v7, v41, vcc_lo
	v_mov_b32_e32 v67, 0
	v_max_i32_e32 v27, 0, v68
	v_cmp_lt_i32_e32 vcc_lo, 0, v68
	v_add_nc_u32_e32 v8, 31, v27
	s_and_b32 s14, s26, vcc_lo
	v_lshrrev_b32_e32 v8, 1, v8
	v_and_b32_e32 v9, 0x3ffffff0, v8
	v_mov_b32_e32 v8, 0
	v_max_i32_e32 v66, s23, v9
	s_and_saveexec_b32 s41, s14
	s_cbranch_execz .LBB6_563
; %bb.445:                              ;   in Loop: Header=BB6_89 Depth=2
	v_mov_b32_e32 v67, 0
	s_mov_b32 s44, 1
	s_mov_b32 s43, -1
	s_mov_b32 s42, 0
	s_branch .LBB6_447
.LBB6_446:                              ;   in Loop: Header=BB6_447 Depth=3
	s_or_b32 exec_lo, exec_lo, s14
	v_add_nc_u32_e32 v67, v66, v67
	s_xor_b32 s14, s43, -1
	v_mov_b32_e32 v8, s44
	s_mov_b32 s43, 0
	s_mov_b32 s44, 2
	v_cmp_ge_i32_e32 vcc_lo, v67, v27
	s_or_b32 s14, s14, vcc_lo
	s_and_b32 s14, exec_lo, s14
	s_or_b32 s42, s14, s42
	s_andn2_b32 exec_lo, exec_lo, s42
	s_cbranch_execz .LBB6_562
.LBB6_447:                              ;   Parent Loop BB6_53 Depth=1
                                        ;     Parent Loop BB6_89 Depth=2
                                        ; =>    This Loop Header: Depth=3
                                        ;         Child Loop BB6_455 Depth 4
                                        ;         Child Loop BB6_479 Depth 4
	;; [unrolled: 1-line block ×8, first 2 shown]
	s_and_saveexec_b32 s15, s4
	s_cbranch_execz .LBB6_449
; %bb.448:                              ;   in Loop: Header=BB6_447 Depth=3
	s_trap 2
	ds_read_b128 v[52:55], v0
	v_ashrrev_i32_e32 v9, 31, v67
	s_waitcnt lgkmcnt(0)
	v_add_co_u32 v8, vcc_lo, v54, v68
	v_add_co_ci_u32_e64 v64, null, v55, v69, vcc_lo
	v_add_co_u32 v52, vcc_lo, v52, v68
	v_add_co_ci_u32_e64 v53, null, v53, v69, vcc_lo
	;; [unrolled: 2-line block ×3, first 2 shown]
	v_cmp_ne_u64_e32 vcc_lo, 0, v[54:55]
	v_add_co_u32 v8, s14, v52, v67
	v_add_co_ci_u32_e64 v9, null, v53, v9, s14
	v_cndmask_b32_e32 v53, 0, v64, vcc_lo
	v_cndmask_b32_e32 v52, 0, v65, vcc_lo
	ds_write_b64 v0, v[8:9]
	ds_write_b64 v0, v[52:53]
.LBB6_449:                              ;   in Loop: Header=BB6_447 Depth=3
	s_or_b32 exec_lo, exec_lo, s15
	v_and_b32_e32 v8, 4, v87
	s_mov_b32 s15, exec_lo
	v_cmpx_ne_u32_e32 0, v8
	s_cbranch_execz .LBB6_471
; %bb.450:                              ;   in Loop: Header=BB6_447 Depth=3
	v_add_co_u32 v8, vcc_lo, v48, 2
	v_add_co_ci_u32_e64 v9, null, 0, v49, vcc_lo
	s_mov_b32 s45, exec_lo
	s_waitcnt vmcnt(0)
	v_cmpx_lt_u64_e64 v[22:23], v[8:9]
	s_cbranch_execz .LBB6_462
; %bb.451:                              ;   in Loop: Header=BB6_447 Depth=3
	v_and_b32_e32 v22, 64, v87
	s_mov_b32 s46, 0
	s_mov_b32 s58, 0
                                        ; implicit-def: $sgpr47
                                        ; implicit-def: $sgpr56
                                        ; implicit-def: $sgpr57
	v_cmp_eq_u32_e32 vcc_lo, 0, v22
	s_branch .LBB6_455
.LBB6_452:                              ;   in Loop: Header=BB6_455 Depth=4
	s_waitcnt vmcnt(0) lgkmcnt(0)
	v_cmp_ge_u64_e64 s14, v[22:23], v[8:9]
	s_or_b32 s61, s61, exec_lo
	s_orn2_b32 s60, s14, exec_lo
.LBB6_453:                              ;   in Loop: Header=BB6_455 Depth=4
	s_or_b32 exec_lo, exec_lo, s63
	s_andn2_b32 s14, s57, exec_lo
	s_and_b32 s57, s61, exec_lo
	s_andn2_b32 s56, s56, exec_lo
	s_and_b32 s60, s60, exec_lo
	s_or_b32 s57, s14, s57
	s_or_b32 s56, s56, s60
.LBB6_454:                              ;   in Loop: Header=BB6_455 Depth=4
	s_or_b32 exec_lo, exec_lo, s59
	s_and_b32 s14, exec_lo, s56
	s_or_b32 s46, s14, s46
	s_andn2_b32 s14, s47, exec_lo
	s_and_b32 s47, s57, exec_lo
	s_or_b32 s47, s14, s47
	s_andn2_b32 exec_lo, exec_lo, s46
	s_cbranch_execz .LBB6_459
.LBB6_455:                              ;   Parent Loop BB6_53 Depth=1
                                        ;     Parent Loop BB6_89 Depth=2
                                        ;       Parent Loop BB6_447 Depth=3
                                        ; =>      This Inner Loop Header: Depth=4
	s_sleep 1
	s_waitcnt vmcnt(0) lgkmcnt(0)
	flat_load_dwordx2 v[22:23], v[16:17] glc dlc
	s_or_b32 s57, s57, exec_lo
	s_or_b32 s56, s56, exec_lo
                                        ; implicit-def: $vgpr49
	s_and_saveexec_b32 s59, vcc_lo
	s_cbranch_execz .LBB6_454
; %bb.456:                              ;   in Loop: Header=BB6_455 Depth=4
	s_cmpk_lt_i32 s58, 0x270f
	s_mov_b32 s60, -1
	s_cselect_b32 s62, -1, 0
	s_cmpk_gt_i32 s58, 0x270e
	s_cbranch_scc0 .LBB6_458
; %bb.457:                              ;   in Loop: Header=BB6_455 Depth=4
	s_trap 2
	ds_read_b64 v[52:53], v0
	s_andn2_b32 s58, s62, exec_lo
	s_mov_b32 s61, 0
	s_waitcnt vmcnt(0) lgkmcnt(0)
	s_waitcnt_vscnt null, 0x0
	flat_load_dword v49, v[52:53] glc dlc
	s_waitcnt vmcnt(0) lgkmcnt(0)
	buffer_gl1_inv
	buffer_gl0_inv
	v_cmp_eq_u32_e64 s14, 0, v49
	s_and_b32 s14, s14, exec_lo
	s_or_b32 s62, s58, s14
	s_mov_b32 s58, 0
	s_and_saveexec_b32 s63, s62
	s_cbranch_execz .LBB6_453
	s_branch .LBB6_452
.LBB6_458:                              ;   in Loop: Header=BB6_455 Depth=4
	s_add_i32 s58, s58, 1
	s_mov_b32 s61, -1
                                        ; implicit-def: $vgpr49
	s_and_saveexec_b32 s63, s62
	s_cbranch_execz .LBB6_453
	s_branch .LBB6_452
.LBB6_459:                              ;   in Loop: Header=BB6_447 Depth=3
	s_or_b32 exec_lo, exec_lo, s46
	s_xor_b32 s14, s47, -1
	s_and_saveexec_b32 s46, s14
	s_xor_b32 s14, exec_lo, s46
	s_cbranch_execz .LBB6_461
; %bb.460:                              ;   in Loop: Header=BB6_447 Depth=3
	v_or_b32_e32 v87, 64, v87
	s_waitcnt vmcnt(0) lgkmcnt(0)
	s_waitcnt_vscnt null, 0x0
	ds_write_b32 v0, v49
	s_trap 2
.LBB6_461:                              ;   in Loop: Header=BB6_447 Depth=3
	s_or_b32 exec_lo, exec_lo, s14
.LBB6_462:                              ;   in Loop: Header=BB6_447 Depth=3
	s_or_b32 exec_lo, exec_lo, s45
	v_and_b32_e32 v49, 0x100, v87
	v_and_b32_e32 v54, 7, v48
	s_mov_b32 s14, -1
	;;#ASMSTART
	s_wakeup
	;;#ASMEND
	v_cmp_ne_u32_e32 vcc_lo, 0, v49
                                        ; implicit-def: $vgpr48_vgpr49
	s_and_saveexec_b32 s45, vcc_lo
	s_cbranch_execz .LBB6_466
; %bb.463:                              ;   in Loop: Header=BB6_447 Depth=3
	v_mad_u64_u32 v[52:53], null, v54, 24, v[4:5]
	flat_load_dword v48, v[52:53]
	s_waitcnt vmcnt(0) lgkmcnt(0)
	v_cmp_eq_u32_e64 s14, 1, v48
	v_cmp_ne_u32_e32 vcc_lo, 1, v48
                                        ; implicit-def: $vgpr48_vgpr49
	s_and_saveexec_b32 s46, s14
	s_cbranch_execz .LBB6_465
; %bb.464:                              ;   in Loop: Header=BB6_447 Depth=3
	flat_load_dword v48, v[52:53] offset:4 glc dlc
	s_waitcnt vmcnt(0) lgkmcnt(0)
	v_ashrrev_i32_e32 v49, 31, v48
.LBB6_465:                              ;   in Loop: Header=BB6_447 Depth=3
	s_or_b32 exec_lo, exec_lo, s46
	s_orn2_b32 s14, vcc_lo, exec_lo
.LBB6_466:                              ;   in Loop: Header=BB6_447 Depth=3
	s_or_b32 exec_lo, exec_lo, s45
	s_and_saveexec_b32 s45, s14
; %bb.467:                              ;   in Loop: Header=BB6_447 Depth=3
	v_mad_i64_i32 v[48:49], null, v54, v96, 0
; %bb.468:                              ;   in Loop: Header=BB6_447 Depth=3
	s_or_b32 exec_lo, exec_lo, s45
	v_add_co_u32 v48, vcc_lo, v18, v48
	v_and_b32_e32 v52, 0x2000, v87
	v_add_co_ci_u32_e64 v49, null, v19, v49, vcc_lo
	s_mov_b32 s14, exec_lo
	ds_write_b64 v0, v[48:49] offset:720
	v_cmpx_ne_u32_e32 0, v52
	s_cbranch_execz .LBB6_470
; %bb.469:                              ;   in Loop: Header=BB6_447 Depth=3
	ds_read_b64 v[48:49], v0 offset:872
	s_waitcnt lgkmcnt(0)
	v_add_co_u32 v48, vcc_lo, v48, 1
	v_add_co_ci_u32_e64 v49, null, 0, v49, vcc_lo
	ds_write_b64 v0, v[48:49] offset:872
.LBB6_470:                              ;   in Loop: Header=BB6_447 Depth=3
	s_or_b32 exec_lo, exec_lo, s14
	v_mov_b32_e32 v49, v9
	v_mov_b32_e32 v48, v8
.LBB6_471:                              ;   in Loop: Header=BB6_447 Depth=3
	s_or_b32 exec_lo, exec_lo, s15
	s_and_saveexec_b32 s14, s5
	s_cbranch_execz .LBB6_490
; %bb.472:                              ;   in Loop: Header=BB6_447 Depth=3
	s_and_saveexec_b32 s15, s24
	s_xor_b32 s15, exec_lo, s15
	s_cbranch_execz .LBB6_487
; %bb.473:                              ;   in Loop: Header=BB6_447 Depth=3
	s_and_saveexec_b32 s45, s7
	s_cbranch_execz .LBB6_486
; %bb.474:                              ;   in Loop: Header=BB6_447 Depth=3
	s_mov_b32 s47, exec_lo
	s_mov_b32 s46, exec_lo
	v_mbcnt_lo_u32_b32 v8, s47, 0
	s_waitcnt vmcnt(0) lgkmcnt(0)
	s_waitcnt_vscnt null, 0x0
	buffer_gl1_inv
	buffer_gl0_inv
	v_cmpx_eq_u32_e32 0, v8
	s_cbranch_execz .LBB6_476
; %bb.475:                              ;   in Loop: Header=BB6_447 Depth=3
	s_bcnt1_i32_b32 s47, s47
	v_mov_b32_e32 v9, v26
	v_mov_b32_e32 v8, s47
	ds_add_u64 v0, v[8:9]
	s_trap 2
.LBB6_476:                              ;   in Loop: Header=BB6_447 Depth=3
	s_or_b32 exec_lo, exec_lo, s46
	s_trap 2
	ds_read_b64 v[8:9], v0
	s_waitcnt lgkmcnt(0)
	buffer_gl0_inv
	v_add_co_u32 v10, vcc_lo, v10, v97
	v_add_co_ci_u32_e64 v11, null, 0, v11, vcc_lo
	s_mov_b32 s46, exec_lo
	v_cmpx_lt_u64_e64 v[8:9], v[10:11]
	s_cbranch_execz .LBB6_485
; %bb.477:                              ;   in Loop: Header=BB6_447 Depth=3
	s_mov_b32 s47, 0
	s_mov_b32 s58, 0
                                        ; implicit-def: $sgpr56
                                        ; implicit-def: $sgpr57
	s_inst_prefetch 0x1
	s_branch .LBB6_479
	.p2align	6
.LBB6_478:                              ;   in Loop: Header=BB6_479 Depth=4
	s_or_b32 exec_lo, exec_lo, s60
	s_and_b32 s59, exec_lo, s61
	s_or_b32 s47, s59, s47
	s_andn2_b32 s56, s56, exec_lo
	s_and_b32 s59, s57, exec_lo
	s_or_b32 s56, s56, s59
	s_andn2_b32 exec_lo, exec_lo, s47
	s_cbranch_execz .LBB6_483
.LBB6_479:                              ;   Parent Loop BB6_53 Depth=1
                                        ;     Parent Loop BB6_89 Depth=2
                                        ;       Parent Loop BB6_447 Depth=3
                                        ; =>      This Inner Loop Header: Depth=4
	s_add_i32 s58, s58, 1
	s_cmpk_lg_i32 s58, 0x2710
	s_cselect_b32 s59, -1, 0
	s_and_b32 vcc_lo, exec_lo, s59
	s_cbranch_vccz .LBB6_481
; %bb.480:                              ;   in Loop: Header=BB6_479 Depth=4
	s_mov_b32 s61, -1
	s_or_b32 s57, s57, exec_lo
	s_and_saveexec_b32 s60, s59
	s_cbranch_execz .LBB6_478
	s_branch .LBB6_482
	.p2align	6
.LBB6_481:                              ;   in Loop: Header=BB6_479 Depth=4
	s_trap 2
	ds_read_b64 v[8:9], v0
	s_andn2_b32 s59, s59, exec_lo
	s_mov_b32 s58, 0
	s_waitcnt lgkmcnt(0)
	flat_load_dword v8, v[8:9] glc dlc
	s_waitcnt vmcnt(0) lgkmcnt(0)
	buffer_gl1_inv
	buffer_gl0_inv
	v_cmp_eq_u32_e32 vcc_lo, 0, v8
	s_and_b32 s60, vcc_lo, exec_lo
	s_or_b32 s59, s59, s60
	s_mov_b32 s61, -1
	s_or_b32 s57, s57, exec_lo
	s_and_saveexec_b32 s60, s59
	s_cbranch_execz .LBB6_478
.LBB6_482:                              ;   in Loop: Header=BB6_479 Depth=4
	s_sleep 1
	s_trap 2
	ds_read_b64 v[8:9], v0
	s_waitcnt lgkmcnt(0)
	buffer_gl0_inv
	s_andn2_b32 s57, s57, exec_lo
	v_cmp_ge_u64_e32 vcc_lo, v[8:9], v[10:11]
	s_orn2_b32 s61, vcc_lo, exec_lo
	s_branch .LBB6_478
.LBB6_483:                              ;   in Loop: Header=BB6_447 Depth=3
	s_inst_prefetch 0x2
	s_or_b32 exec_lo, exec_lo, s47
	s_and_saveexec_b32 s47, s56
	s_xor_b32 s47, exec_lo, s47
	s_cbranch_execz .LBB6_485
; %bb.484:                              ;   in Loop: Header=BB6_447 Depth=3
	ds_write_b32 v0, v116
	s_trap 2
.LBB6_485:                              ;   in Loop: Header=BB6_447 Depth=3
	s_or_b32 exec_lo, exec_lo, s46
	;;#ASMSTART
	s_wakeup
	;;#ASMEND
.LBB6_486:                              ;   in Loop: Header=BB6_447 Depth=3
	s_or_b32 exec_lo, exec_lo, s45
.LBB6_487:                              ;   in Loop: Header=BB6_447 Depth=3
	s_andn2_saveexec_b32 s15, s15
	s_cbranch_execz .LBB6_489
; %bb.488:                              ;   in Loop: Header=BB6_447 Depth=3
	s_waitcnt vmcnt(0) lgkmcnt(0)
	s_waitcnt_vscnt null, 0x0
	buffer_gl1_inv
	buffer_gl0_inv
	s_barrier
.LBB6_489:                              ;   in Loop: Header=BB6_447 Depth=3
	s_or_b32 exec_lo, exec_lo, s15
.LBB6_490:                              ;   in Loop: Header=BB6_447 Depth=3
	s_or_b32 exec_lo, exec_lo, s14
	s_trap 2
	ds_read_b32 v54, v0
	v_and_b32_e32 v8, 0x4000, v87
	s_xor_b32 s14, s10, -1
	v_cmp_ne_u32_e32 vcc_lo, 0, v8
	s_and_b32 s15, s14, vcc_lo
	s_and_saveexec_b32 s14, s15
	s_cbranch_execz .LBB6_509
; %bb.491:                              ;   in Loop: Header=BB6_447 Depth=3
	s_and_saveexec_b32 s15, s24
	s_xor_b32 s15, exec_lo, s15
	s_cbranch_execz .LBB6_506
; %bb.492:                              ;   in Loop: Header=BB6_447 Depth=3
	s_and_saveexec_b32 s45, s7
	s_cbranch_execz .LBB6_505
; %bb.493:                              ;   in Loop: Header=BB6_447 Depth=3
	s_mov_b32 s47, exec_lo
	s_mov_b32 s46, exec_lo
	v_mbcnt_lo_u32_b32 v8, s47, 0
	s_waitcnt vmcnt(0) lgkmcnt(0)
	s_waitcnt_vscnt null, 0x0
	buffer_gl1_inv
	buffer_gl0_inv
	v_cmpx_eq_u32_e32 0, v8
	s_cbranch_execz .LBB6_495
; %bb.494:                              ;   in Loop: Header=BB6_447 Depth=3
	s_bcnt1_i32_b32 s47, s47
	v_mov_b32_e32 v9, v26
	v_mov_b32_e32 v8, s47
	ds_add_u64 v0, v[8:9]
	s_trap 2
.LBB6_495:                              ;   in Loop: Header=BB6_447 Depth=3
	s_or_b32 exec_lo, exec_lo, s46
	s_trap 2
	ds_read_b64 v[8:9], v0
	s_waitcnt lgkmcnt(0)
	buffer_gl0_inv
	v_add_co_u32 v10, vcc_lo, v10, v97
	v_add_co_ci_u32_e64 v11, null, 0, v11, vcc_lo
	s_mov_b32 s46, exec_lo
	v_cmpx_lt_u64_e64 v[8:9], v[10:11]
	s_cbranch_execz .LBB6_504
; %bb.496:                              ;   in Loop: Header=BB6_447 Depth=3
	s_mov_b32 s47, 0
	s_mov_b32 s58, 0
                                        ; implicit-def: $sgpr56
                                        ; implicit-def: $sgpr57
	s_inst_prefetch 0x1
	s_branch .LBB6_498
	.p2align	6
.LBB6_497:                              ;   in Loop: Header=BB6_498 Depth=4
	s_or_b32 exec_lo, exec_lo, s60
	s_and_b32 s59, exec_lo, s61
	s_or_b32 s47, s59, s47
	s_andn2_b32 s56, s56, exec_lo
	s_and_b32 s59, s57, exec_lo
	s_or_b32 s56, s56, s59
	s_andn2_b32 exec_lo, exec_lo, s47
	s_cbranch_execz .LBB6_502
.LBB6_498:                              ;   Parent Loop BB6_53 Depth=1
                                        ;     Parent Loop BB6_89 Depth=2
                                        ;       Parent Loop BB6_447 Depth=3
                                        ; =>      This Inner Loop Header: Depth=4
	s_add_i32 s58, s58, 1
	s_cmpk_lg_i32 s58, 0x2710
	s_cselect_b32 s59, -1, 0
	s_and_b32 vcc_lo, exec_lo, s59
	s_cbranch_vccz .LBB6_500
; %bb.499:                              ;   in Loop: Header=BB6_498 Depth=4
	s_mov_b32 s61, -1
	s_or_b32 s57, s57, exec_lo
	s_and_saveexec_b32 s60, s59
	s_cbranch_execz .LBB6_497
	s_branch .LBB6_501
	.p2align	6
.LBB6_500:                              ;   in Loop: Header=BB6_498 Depth=4
	s_trap 2
	ds_read_b64 v[8:9], v0
	s_andn2_b32 s59, s59, exec_lo
	s_mov_b32 s58, 0
	s_waitcnt lgkmcnt(0)
	flat_load_dword v8, v[8:9] glc dlc
	s_waitcnt vmcnt(0) lgkmcnt(0)
	buffer_gl1_inv
	buffer_gl0_inv
	v_cmp_eq_u32_e32 vcc_lo, 0, v8
	s_and_b32 s60, vcc_lo, exec_lo
	s_or_b32 s59, s59, s60
	s_mov_b32 s61, -1
	s_or_b32 s57, s57, exec_lo
	s_and_saveexec_b32 s60, s59
	s_cbranch_execz .LBB6_497
.LBB6_501:                              ;   in Loop: Header=BB6_498 Depth=4
	s_sleep 1
	s_trap 2
	ds_read_b64 v[8:9], v0
	s_waitcnt lgkmcnt(0)
	buffer_gl0_inv
	s_andn2_b32 s57, s57, exec_lo
	v_cmp_ge_u64_e32 vcc_lo, v[8:9], v[10:11]
	s_orn2_b32 s61, vcc_lo, exec_lo
	s_branch .LBB6_497
.LBB6_502:                              ;   in Loop: Header=BB6_447 Depth=3
	s_inst_prefetch 0x2
	s_or_b32 exec_lo, exec_lo, s47
	s_and_saveexec_b32 s47, s56
	s_xor_b32 s47, exec_lo, s47
	s_cbranch_execz .LBB6_504
; %bb.503:                              ;   in Loop: Header=BB6_447 Depth=3
	ds_write_b32 v0, v116
	s_trap 2
.LBB6_504:                              ;   in Loop: Header=BB6_447 Depth=3
	s_or_b32 exec_lo, exec_lo, s46
	;;#ASMSTART
	s_wakeup
	;;#ASMEND
.LBB6_505:                              ;   in Loop: Header=BB6_447 Depth=3
	s_or_b32 exec_lo, exec_lo, s45
.LBB6_506:                              ;   in Loop: Header=BB6_447 Depth=3
	s_andn2_saveexec_b32 s15, s15
	s_cbranch_execz .LBB6_508
; %bb.507:                              ;   in Loop: Header=BB6_447 Depth=3
	s_waitcnt vmcnt(0) lgkmcnt(0)
	s_waitcnt_vscnt null, 0x0
	buffer_gl1_inv
	buffer_gl0_inv
	s_barrier
.LBB6_508:                              ;   in Loop: Header=BB6_447 Depth=3
	s_or_b32 exec_lo, exec_lo, s15
.LBB6_509:                              ;   in Loop: Header=BB6_447 Depth=3
	s_or_b32 exec_lo, exec_lo, s14
	s_trap 2
	ds_read_b64 v[8:9], v0
	v_sub_nc_u32_e32 v52, v27, v67
	v_min_i32_e32 v66, v66, v52
	s_waitcnt lgkmcnt(0)
	v_cmp_eq_u64_e32 vcc_lo, 0, v[8:9]
	s_cbranch_vccnz .LBB6_517
; %bb.510:                              ;   in Loop: Header=BB6_447 Depth=3
	s_trap 2
	ds_read_b64 v[52:53], v0
	s_waitcnt lgkmcnt(0)
	v_cmp_eq_u64_e32 vcc_lo, 0, v[52:53]
	s_cbranch_vccnz .LBB6_517
; %bb.511:                              ;   in Loop: Header=BB6_447 Depth=3
	s_mov_b32 s14, -1
	s_and_saveexec_b32 s15, s11
	s_cbranch_execz .LBB6_513
; %bb.512:                              ;   in Loop: Header=BB6_447 Depth=3
	ds_read_b32 v55, v0 offset:720
	s_waitcnt lgkmcnt(0)
	v_and_b32_e32 v55, 15, v55
	v_cmp_eq_u32_e32 vcc_lo, 0, v55
	s_orn2_b32 s14, vcc_lo, exec_lo
.LBB6_513:                              ;   in Loop: Header=BB6_447 Depth=3
	s_or_b32 exec_lo, exec_lo, s15
	s_and_saveexec_b32 s15, s6
	s_cbranch_execz .LBB6_515
; %bb.514:                              ;   in Loop: Header=BB6_447 Depth=3
	ds_read_b32 v55, v0 offset:784
	s_waitcnt lgkmcnt(0)
	v_and_b32_e32 v55, 15, v55
	v_cmp_eq_u32_e32 vcc_lo, 0, v55
	s_and_b32 s45, s14, vcc_lo
	s_andn2_b32 s14, s14, exec_lo
	s_and_b32 s45, s45, exec_lo
	s_or_b32 s14, s14, s45
.LBB6_515:                              ;   in Loop: Header=BB6_447 Depth=3
	s_or_b32 exec_lo, exec_lo, s15
	v_cmp_eq_u32_e32 vcc_lo, 0, v54
	s_xor_b32 s14, s14, -1
	v_mov_b32_e32 v54, 0
	v_cndmask_b32_e64 v55, 0, 1, s14
	v_mov_b32_e32 v64, v0
	v_cndmask_b32_e32 v70, 0, v66, vcc_lo
	v_mov_b32_e32 v83, v28
	s_mov_b32 s14, -1
	v_cmp_ne_u32_e32 vcc_lo, 0, v55
	v_mov_b32_e32 v55, v70
	s_cbranch_vccz .LBB6_518
; %bb.516:                              ;   in Loop: Header=BB6_447 Depth=3
	s_and_saveexec_b32 s15, s14
	s_cbranch_execnz .LBB6_531
	s_branch .LBB6_539
.LBB6_517:                              ;   in Loop: Header=BB6_447 Depth=3
	s_mov_b32 s14, 0
	s_and_saveexec_b32 s15, s5
	s_cbranch_execnz .LBB6_540
	s_branch .LBB6_558
.LBB6_518:                              ;   in Loop: Header=BB6_447 Depth=3
	v_ashrrev_i32_e32 v54, 31, v70
	s_mov_b32 s15, exec_lo
	v_lshrrev_b32_e32 v54, 20, v54
	v_add_nc_u32_e32 v54, v70, v54
	v_ashrrev_i32_e32 v80, 12, v54
	v_sub_nc_u32_e32 v71, v80, v28
	v_cmpx_lt_i32_e32 0, v71
	s_cbranch_execz .LBB6_522
; %bb.519:                              ;   in Loop: Header=BB6_447 Depth=3
	v_mov_b32_e32 v55, v53
	v_mov_b32_e32 v65, v9
	;; [unrolled: 1-line block ×4, first 2 shown]
	s_mov_b32 s45, 0
.LBB6_520:                              ;   Parent Loop BB6_53 Depth=1
                                        ;     Parent Loop BB6_89 Depth=2
                                        ;       Parent Loop BB6_447 Depth=3
                                        ; =>      This Inner Loop Header: Depth=4
	v_add_co_u32 v46, vcc_lo, v100, v64
	v_add_co_ci_u32_e64 v47, null, v101, v65, vcc_lo
	v_sub_nc_u32_e32 v71, v71, v97
	v_add_co_u32 v92, vcc_lo, 0x800, v46
	v_add_co_ci_u32_e64 v93, null, 0, v47, vcc_lo
	s_clause 0x3
	global_load_dwordx4 v[81:84], v[46:47], off slc
	global_load_dwordx4 v[42:45], v[46:47], off offset:512 slc
	global_load_dwordx4 v[56:59], v[46:47], off offset:1024 slc
	;; [unrolled: 1-line block ×3, first 2 shown]
	s_clause 0x3
	global_load_dwordx4 v[72:75], v[92:93], off slc
	global_load_dwordx4 v[76:79], v[92:93], off offset:512 slc
	global_load_dwordx4 v[88:91], v[92:93], off offset:1024 slc
	;; [unrolled: 1-line block ×3, first 2 shown]
	v_add_co_u32 v46, vcc_lo, v100, v54
	v_add_co_ci_u32_e64 v47, null, v101, v55, vcc_lo
	v_add_co_u32 v64, vcc_lo, v64, v98
	v_add_co_ci_u32_e64 v65, null, 0, v65, vcc_lo
	;; [unrolled: 2-line block ×3, first 2 shown]
	v_cmp_gt_i32_e32 vcc_lo, 1, v71
	v_add_co_u32 v104, s14, 0x800, v46
	v_add_co_ci_u32_e64 v105, null, 0, v47, s14
	s_or_b32 s45, vcc_lo, s45
	s_waitcnt vmcnt(7)
	global_store_dwordx4 v[46:47], v[81:84], off glc slc
	s_waitcnt vmcnt(6)
	global_store_dwordx4 v[46:47], v[42:45], off offset:512 glc slc
	s_waitcnt vmcnt(5)
	global_store_dwordx4 v[46:47], v[56:59], off offset:1024 glc slc
	;; [unrolled: 2-line block ×3, first 2 shown]
	s_waitcnt vmcnt(3)
	global_store_dwordx4 v[104:105], v[72:75], off glc slc
	s_waitcnt vmcnt(2)
	global_store_dwordx4 v[104:105], v[76:79], off offset:512 glc slc
	s_waitcnt vmcnt(1)
	global_store_dwordx4 v[104:105], v[88:91], off offset:1024 glc slc
	;; [unrolled: 2-line block ×3, first 2 shown]
	s_andn2_b32 exec_lo, exec_lo, s45
	s_cbranch_execnz .LBB6_520
; %bb.521:                              ;   in Loop: Header=BB6_447 Depth=3
	s_or_b32 exec_lo, exec_lo, s45
.LBB6_522:                              ;   in Loop: Header=BB6_447 Depth=3
	s_or_b32 exec_lo, exec_lo, s15
	v_lshlrev_b32_e32 v65, 12, v80
	v_mov_b32_e32 v54, 0
	s_mov_b32 s14, 0
	s_mov_b32 s45, exec_lo
                                        ; implicit-def: $vgpr55
                                        ; implicit-def: $vgpr64
                                        ; implicit-def: $vgpr83
	v_cmpx_ne_u32_e64 v70, v65
	s_cbranch_execz .LBB6_530
; %bb.523:                              ;   in Loop: Header=BB6_447 Depth=3
	v_lshlrev_b32_e32 v54, 5, v71
	v_sub_nc_u32_e32 v64, v70, v65
	s_mov_b32 s46, exec_lo
	v_sub_nc_u32_e32 v54, v99, v54
	v_ashrrev_i32_e32 v71, 31, v64
	v_ashrrev_i32_e32 v55, 31, v54
	v_lshrrev_b32_e32 v71, 23, v71
	v_lshrrev_b32_e32 v55, 27, v55
	v_add_nc_u32_e32 v82, v64, v71
	v_add_nc_u32_e32 v55, v54, v55
	v_and_b32_e32 v71, 0xfffffe00, v82
	v_ashrrev_i32_e32 v82, 9, v82
	v_and_b32_e32 v80, 0xffffffe0, v55
	v_sub_nc_u32_e32 v81, v64, v71
	v_ashrrev_i32_e32 v83, 5, v55
	v_sub_nc_u32_e32 v80, v54, v80
	v_cmp_lt_i32_e32 vcc_lo, 15, v81
	v_lshlrev_b32_e32 v54, 4, v80
	v_add_co_ci_u32_e64 v82, null, 0, v82, vcc_lo
	v_lshl_add_u32 v55, v83, 9, v54
	v_sub_nc_u32_e32 v82, v82, v83
	v_sub_nc_u32_e32 v54, v64, v55
	v_cmpx_lt_i32_e32 15, v54
	s_cbranch_execz .LBB6_527
; %bb.524:                              ;   in Loop: Header=BB6_447 Depth=3
	v_add_nc_u32_e32 v55, v55, v65
	s_mov_b32 s47, 0
	v_ashrrev_i32_e32 v64, 31, v55
	.p2align	6
.LBB6_525:                              ;   Parent Loop BB6_53 Depth=1
                                        ;     Parent Loop BB6_89 Depth=2
                                        ;       Parent Loop BB6_447 Depth=3
                                        ; =>      This Inner Loop Header: Depth=4
	v_add_co_u32 v83, s14, v8, v55
	v_add_co_ci_u32_e64 v84, null, v9, v64, s14
	v_sub_nc_u32_e32 v54, v54, v102
	v_sub_nc_u32_e32 v82, v82, v97
	global_load_dwordx4 v[42:45], v[83:84], off slc
	v_add_co_u32 v83, s14, v52, v55
	v_add_co_ci_u32_e64 v84, null, v53, v64, s14
	v_cmp_gt_i32_e64 s14, 16, v54
	v_add_co_u32 v55, s15, v55, v102
	v_add_co_ci_u32_e64 v64, null, 0, v64, s15
	s_or_b32 s47, s14, s47
	s_waitcnt vmcnt(0)
	global_store_dwordx4 v[83:84], v[42:45], off glc slc
	s_andn2_b32 exec_lo, exec_lo, s47
	s_cbranch_execnz .LBB6_525
; %bb.526:                              ;   in Loop: Header=BB6_447 Depth=3
	s_or_b32 exec_lo, exec_lo, s47
.LBB6_527:                              ;   in Loop: Header=BB6_447 Depth=3
	s_or_b32 exec_lo, exec_lo, s46
	v_and_b32_e32 v84, 15, v70
	v_mov_b32_e32 v54, 0
	s_mov_b32 s15, 0
	s_mov_b32 s46, exec_lo
                                        ; implicit-def: $vgpr64
                                        ; implicit-def: $vgpr83
	v_cndmask_b32_e32 v55, v81, v84, vcc_lo
	v_cmpx_ne_u32_e32 0, v55
	s_cbranch_execz .LBB6_529
; %bb.528:                              ;   in Loop: Header=BB6_447 Depth=3
	v_cmp_lt_i32_e64 s14, 0, v82
	s_mov_b32 s15, exec_lo
	v_cndmask_b32_e64 v54, 0, v97, s14
	v_sub_nc_u32_e32 v54, v54, v82
	v_lshl_add_u32 v64, v54, 5, v80
	v_sub_nc_u32_e32 v80, v81, v84
	v_ashrrev_i32_e32 v54, 31, v64
	v_cndmask_b32_e32 v80, 0, v80, vcc_lo
	v_lshrrev_b32_e32 v54, 27, v54
	v_add_nc_u32_e32 v81, v64, v54
	v_add3_u32 v54, v71, v65, v80
	v_ashrrev_i32_e32 v83, 5, v81
.LBB6_529:                              ;   in Loop: Header=BB6_447 Depth=3
	s_or_b32 exec_lo, exec_lo, s46
	s_and_b32 s14, s15, exec_lo
.LBB6_530:                              ;   in Loop: Header=BB6_447 Depth=3
	s_or_b32 exec_lo, exec_lo, s45
	s_and_saveexec_b32 s15, s14
	s_cbranch_execz .LBB6_539
.LBB6_531:                              ;   in Loop: Header=BB6_447 Depth=3
	v_ashrrev_i32_e32 v65, 31, v55
	v_ashrrev_i32_e32 v71, 31, v64
	s_mov_b32 s14, exec_lo
	v_lshrrev_b32_e32 v65, 22, v65
	v_lshrrev_b32_e32 v71, 27, v71
	v_add_nc_u32_e32 v65, v55, v65
	v_ashrrev_i32_e32 v80, 10, v65
	v_sub_nc_u32_e32 v65, v80, v83
	v_cmpx_lt_i32_e32 0, v65
	s_cbranch_execz .LBB6_535
; %bb.532:                              ;   in Loop: Header=BB6_447 Depth=3
	v_add_nc_u32_e32 v81, v64, v71
	v_lshlrev_b32_e32 v82, 10, v83
	s_mov_b32 s45, 0
	v_and_b32_e32 v81, 0xffffffe0, v81
	v_sub_nc_u32_e32 v81, v64, v81
	v_add3_u32 v81, v54, v81, v82
	v_ashrrev_i32_e32 v82, 31, v81
.LBB6_533:                              ;   Parent Loop BB6_53 Depth=1
                                        ;     Parent Loop BB6_89 Depth=2
                                        ;       Parent Loop BB6_447 Depth=3
                                        ; =>      This Inner Loop Header: Depth=4
	v_add_co_u32 v83, vcc_lo, v81, v8
	v_add_co_ci_u32_e64 v84, null, v82, v9, vcc_lo
	v_sub_nc_u32_e32 v65, v65, v97
	s_clause 0x1f
	flat_load_ubyte v42, v[83:84] slc
	flat_load_ubyte v43, v[83:84] offset:32 slc
	flat_load_ubyte v44, v[83:84] offset:64 slc
	;; [unrolled: 1-line block ×31, first 2 shown]
	v_add_co_u32 v83, vcc_lo, v81, v52
	v_add_co_ci_u32_e64 v84, null, v82, v53, vcc_lo
	v_add_co_u32 v8, vcc_lo, v8, v103
	v_add_co_ci_u32_e64 v9, null, 0, v9, vcc_lo
	;; [unrolled: 2-line block ×3, first 2 shown]
	v_cmp_gt_i32_e32 vcc_lo, 1, v65
	s_waitcnt vmcnt(31) lgkmcnt(31)
	flat_store_byte v[83:84], v42 glc slc
	s_waitcnt vmcnt(30) lgkmcnt(31)
	flat_store_byte v[83:84], v43 offset:32 glc slc
	s_waitcnt vmcnt(29) lgkmcnt(31)
	flat_store_byte v[83:84], v44 offset:64 glc slc
	;; [unrolled: 2-line block ×31, first 2 shown]
	s_or_b32 s45, vcc_lo, s45
	s_andn2_b32 exec_lo, exec_lo, s45
	s_cbranch_execnz .LBB6_533
; %bb.534:                              ;   in Loop: Header=BB6_447 Depth=3
	s_or_b32 exec_lo, exec_lo, s45
.LBB6_535:                              ;   in Loop: Header=BB6_447 Depth=3
	s_or_b32 exec_lo, exec_lo, s14
	v_lshlrev_b32_e32 v8, 10, v80
	v_cmp_ne_u32_e32 vcc_lo, v55, v8
	s_and_b32 exec_lo, exec_lo, vcc_lo
	s_cbranch_execz .LBB6_539
; %bb.536:                              ;   in Loop: Header=BB6_447 Depth=3
	v_add_nc_u32_e32 v9, v64, v71
	v_lshlrev_b32_e32 v52, 5, v65
	v_and_b32_e32 v9, 0xffffffe0, v9
	v_sub_nc_u32_e32 v9, v64, v9
	v_sub_nc_u32_e32 v9, v9, v52
	v_add_nc_u32_e32 v53, v8, v9
	v_sub_nc_u32_e32 v52, v55, v53
	v_cmp_lt_i32_e32 vcc_lo, 0, v52
	s_and_b32 exec_lo, exec_lo, vcc_lo
	s_cbranch_execz .LBB6_539
; %bb.537:                              ;   in Loop: Header=BB6_447 Depth=3
	s_trap 2
	ds_read_b64 v[8:9], v0
	v_add_nc_u32_e32 v53, v53, v54
	s_mov_b32 s45, 0
	v_ashrrev_i32_e32 v54, 31, v53
	.p2align	6
.LBB6_538:                              ;   Parent Loop BB6_53 Depth=1
                                        ;     Parent Loop BB6_89 Depth=2
                                        ;       Parent Loop BB6_447 Depth=3
                                        ; =>      This Inner Loop Header: Depth=4
	s_waitcnt lgkmcnt(0)
	v_add_co_u32 v64, vcc_lo, v8, v53
	v_add_co_ci_u32_e64 v65, null, v9, v54, vcc_lo
	v_sub_nc_u32_e32 v52, v52, v112
	v_add_co_u32 v53, s14, v53, v112
	flat_load_ubyte v55, v[64:65] slc
	v_add_co_ci_u32_e64 v54, null, 0, v54, s14
	v_cmp_gt_i32_e32 vcc_lo, 1, v52
	s_or_b32 s45, vcc_lo, s45
	s_waitcnt vmcnt(0) lgkmcnt(0)
	flat_store_byte v[64:65], v55 glc slc
	s_andn2_b32 exec_lo, exec_lo, s45
	s_cbranch_execnz .LBB6_538
.LBB6_539:                              ;   in Loop: Header=BB6_447 Depth=3
	s_or_b32 exec_lo, exec_lo, s15
	v_cmp_lt_i32_e64 s14, 0, v70
	s_and_saveexec_b32 s15, s5
	s_cbranch_execz .LBB6_558
.LBB6_540:                              ;   in Loop: Header=BB6_447 Depth=3
	s_and_saveexec_b32 s45, s24
	s_xor_b32 s45, exec_lo, s45
	s_cbranch_execz .LBB6_555
; %bb.541:                              ;   in Loop: Header=BB6_447 Depth=3
	s_and_saveexec_b32 s46, s7
	s_cbranch_execz .LBB6_554
; %bb.542:                              ;   in Loop: Header=BB6_447 Depth=3
	s_mov_b32 s56, exec_lo
	s_mov_b32 s47, exec_lo
	v_mbcnt_lo_u32_b32 v8, s56, 0
	s_waitcnt vmcnt(0) lgkmcnt(0)
	s_waitcnt_vscnt null, 0x0
	buffer_gl1_inv
	buffer_gl0_inv
	v_cmpx_eq_u32_e32 0, v8
	s_cbranch_execz .LBB6_544
; %bb.543:                              ;   in Loop: Header=BB6_447 Depth=3
	s_bcnt1_i32_b32 s56, s56
	v_mov_b32_e32 v9, v26
	v_mov_b32_e32 v8, s56
	ds_add_u64 v0, v[8:9]
	s_trap 2
.LBB6_544:                              ;   in Loop: Header=BB6_447 Depth=3
	s_or_b32 exec_lo, exec_lo, s47
	s_trap 2
	ds_read_b64 v[8:9], v0
	s_waitcnt lgkmcnt(0)
	buffer_gl0_inv
	v_add_co_u32 v10, vcc_lo, v10, v97
	v_add_co_ci_u32_e64 v11, null, 0, v11, vcc_lo
	s_mov_b32 s47, exec_lo
	v_cmpx_lt_u64_e64 v[8:9], v[10:11]
	s_cbranch_execz .LBB6_553
; %bb.545:                              ;   in Loop: Header=BB6_447 Depth=3
	s_mov_b32 s56, 0
	s_mov_b32 s59, 0
                                        ; implicit-def: $sgpr57
                                        ; implicit-def: $sgpr58
	s_inst_prefetch 0x1
	s_branch .LBB6_547
	.p2align	6
.LBB6_546:                              ;   in Loop: Header=BB6_547 Depth=4
	s_or_b32 exec_lo, exec_lo, s61
	s_and_b32 s60, exec_lo, s62
	s_or_b32 s56, s60, s56
	s_andn2_b32 s57, s57, exec_lo
	s_and_b32 s60, s58, exec_lo
	s_or_b32 s57, s57, s60
	s_andn2_b32 exec_lo, exec_lo, s56
	s_cbranch_execz .LBB6_551
.LBB6_547:                              ;   Parent Loop BB6_53 Depth=1
                                        ;     Parent Loop BB6_89 Depth=2
                                        ;       Parent Loop BB6_447 Depth=3
                                        ; =>      This Inner Loop Header: Depth=4
	s_add_i32 s59, s59, 1
	s_cmpk_lg_i32 s59, 0x2710
	s_cselect_b32 s60, -1, 0
	s_and_b32 vcc_lo, exec_lo, s60
	s_cbranch_vccz .LBB6_549
; %bb.548:                              ;   in Loop: Header=BB6_547 Depth=4
	s_mov_b32 s62, -1
	s_or_b32 s58, s58, exec_lo
	s_and_saveexec_b32 s61, s60
	s_cbranch_execz .LBB6_546
	s_branch .LBB6_550
	.p2align	6
.LBB6_549:                              ;   in Loop: Header=BB6_547 Depth=4
	s_trap 2
	ds_read_b64 v[8:9], v0
	s_andn2_b32 s60, s60, exec_lo
	s_mov_b32 s59, 0
	s_waitcnt lgkmcnt(0)
	flat_load_dword v8, v[8:9] glc dlc
	s_waitcnt vmcnt(0) lgkmcnt(0)
	buffer_gl1_inv
	buffer_gl0_inv
	v_cmp_eq_u32_e32 vcc_lo, 0, v8
	s_and_b32 s61, vcc_lo, exec_lo
	s_or_b32 s60, s60, s61
	s_mov_b32 s62, -1
	s_or_b32 s58, s58, exec_lo
	s_and_saveexec_b32 s61, s60
	s_cbranch_execz .LBB6_546
.LBB6_550:                              ;   in Loop: Header=BB6_547 Depth=4
	s_sleep 1
	s_trap 2
	ds_read_b64 v[8:9], v0
	s_waitcnt lgkmcnt(0)
	buffer_gl0_inv
	s_andn2_b32 s58, s58, exec_lo
	v_cmp_ge_u64_e32 vcc_lo, v[8:9], v[10:11]
	s_orn2_b32 s62, vcc_lo, exec_lo
	s_branch .LBB6_546
.LBB6_551:                              ;   in Loop: Header=BB6_447 Depth=3
	s_inst_prefetch 0x2
	s_or_b32 exec_lo, exec_lo, s56
	s_and_saveexec_b32 s56, s57
	s_xor_b32 s56, exec_lo, s56
	s_cbranch_execz .LBB6_553
; %bb.552:                              ;   in Loop: Header=BB6_447 Depth=3
	ds_write_b32 v0, v116
	s_trap 2
.LBB6_553:                              ;   in Loop: Header=BB6_447 Depth=3
	s_or_b32 exec_lo, exec_lo, s47
	;;#ASMSTART
	s_wakeup
	;;#ASMEND
.LBB6_554:                              ;   in Loop: Header=BB6_447 Depth=3
	s_or_b32 exec_lo, exec_lo, s46
.LBB6_555:                              ;   in Loop: Header=BB6_447 Depth=3
	s_andn2_saveexec_b32 s45, s45
	s_cbranch_execz .LBB6_557
; %bb.556:                              ;   in Loop: Header=BB6_447 Depth=3
	s_waitcnt vmcnt(0) lgkmcnt(0)
	s_waitcnt_vscnt null, 0x0
	buffer_gl1_inv
	buffer_gl0_inv
	s_barrier
.LBB6_557:                              ;   in Loop: Header=BB6_447 Depth=3
	s_or_b32 exec_lo, exec_lo, s45
.LBB6_558:                              ;   in Loop: Header=BB6_447 Depth=3
	s_or_b32 exec_lo, exec_lo, s15
	v_and_b32_e32 v8, 16, v87
	v_cmp_ne_u32_e32 vcc_lo, 0, v8
	s_and_b32 s15, vcc_lo, s14
	s_and_saveexec_b32 s14, s15
	s_cbranch_execz .LBB6_560
; %bb.559:                              ;   in Loop: Header=BB6_447 Depth=3
	s_waitcnt vmcnt(0) lgkmcnt(0)
	s_waitcnt_vscnt null, 0x0
	buffer_gl1_inv
	buffer_gl0_inv
.LBB6_560:                              ;   in Loop: Header=BB6_447 Depth=3
	s_or_b32 exec_lo, exec_lo, s14
	v_and_b32_e32 v8, 32, v87
	s_mov_b32 s14, exec_lo
	v_cmpx_ne_u32_e32 0, v8
	s_cbranch_execz .LBB6_446
; %bb.561:                              ;   in Loop: Header=BB6_447 Depth=3
	v_add_co_u32 v48, vcc_lo, v48, 2
	v_add_co_ci_u32_e64 v49, null, 0, v49, vcc_lo
	s_waitcnt vmcnt(0) lgkmcnt(0)
	s_waitcnt_vscnt null, 0x0
	flat_store_dwordx2 v[16:17], v[48:49]
	s_branch .LBB6_446
.LBB6_562:                              ;   in Loop: Header=BB6_89 Depth=2
	s_or_b32 exec_lo, exec_lo, s42
.LBB6_563:                              ;   in Loop: Header=BB6_89 Depth=2
	s_or_b32 exec_lo, exec_lo, s41
	s_mov_b32 s15, exec_lo
	v_cmpx_gt_i32_e32 2, v8
	s_cbranch_execz .LBB6_88
; %bb.564:                              ;   in Loop: Header=BB6_89 Depth=2
	v_cmp_eq_u32_e64 s42, 0, v8
	s_mov_b32 s41, 0
	s_branch .LBB6_566
.LBB6_565:                              ;   in Loop: Header=BB6_566 Depth=3
	s_or_b32 exec_lo, exec_lo, s14
	v_add_nc_u32_e32 v67, v66, v67
	s_mov_b32 s42, 0
	s_andn2_b32 exec_lo, exec_lo, s41
	s_cbranch_execz .LBB6_87
.LBB6_566:                              ;   Parent Loop BB6_53 Depth=1
                                        ;     Parent Loop BB6_89 Depth=2
                                        ; =>    This Loop Header: Depth=3
                                        ;         Child Loop BB6_572 Depth 4
                                        ;         Child Loop BB6_596 Depth 4
	v_and_b32_e32 v8, 4, v87
	s_mov_b32 s43, exec_lo
	v_cmpx_ne_u32_e32 0, v8
	s_cbranch_execz .LBB6_588
; %bb.567:                              ;   in Loop: Header=BB6_566 Depth=3
	v_add_co_u32 v8, vcc_lo, v48, 2
	v_add_co_ci_u32_e64 v9, null, 0, v49, vcc_lo
	s_mov_b32 s44, exec_lo
	s_waitcnt vmcnt(0)
	v_cmpx_lt_u64_e64 v[22:23], v[8:9]
	s_cbranch_execz .LBB6_579
; %bb.568:                              ;   in Loop: Header=BB6_566 Depth=3
	v_and_b32_e32 v22, 64, v87
	s_mov_b32 s45, 0
	s_mov_b32 s57, 0
                                        ; implicit-def: $sgpr46
                                        ; implicit-def: $sgpr47
                                        ; implicit-def: $sgpr56
	v_cmp_eq_u32_e32 vcc_lo, 0, v22
	s_branch .LBB6_572
.LBB6_569:                              ;   in Loop: Header=BB6_572 Depth=4
	s_waitcnt vmcnt(0) lgkmcnt(0)
	v_cmp_ge_u64_e64 s14, v[22:23], v[8:9]
	s_or_b32 s60, s60, exec_lo
	s_orn2_b32 s59, s14, exec_lo
.LBB6_570:                              ;   in Loop: Header=BB6_572 Depth=4
	s_or_b32 exec_lo, exec_lo, s62
	s_andn2_b32 s14, s56, exec_lo
	s_and_b32 s56, s60, exec_lo
	s_andn2_b32 s47, s47, exec_lo
	s_and_b32 s59, s59, exec_lo
	s_or_b32 s56, s14, s56
	s_or_b32 s47, s47, s59
.LBB6_571:                              ;   in Loop: Header=BB6_572 Depth=4
	s_or_b32 exec_lo, exec_lo, s58
	s_and_b32 s14, exec_lo, s47
	s_or_b32 s45, s14, s45
	s_andn2_b32 s14, s46, exec_lo
	s_and_b32 s46, s56, exec_lo
	s_or_b32 s46, s14, s46
	s_andn2_b32 exec_lo, exec_lo, s45
	s_cbranch_execz .LBB6_576
.LBB6_572:                              ;   Parent Loop BB6_53 Depth=1
                                        ;     Parent Loop BB6_89 Depth=2
                                        ;       Parent Loop BB6_566 Depth=3
                                        ; =>      This Inner Loop Header: Depth=4
	s_sleep 1
	s_waitcnt vmcnt(0) lgkmcnt(0)
	flat_load_dwordx2 v[22:23], v[16:17] glc dlc
	s_or_b32 s56, s56, exec_lo
	s_or_b32 s47, s47, exec_lo
                                        ; implicit-def: $vgpr49
	s_and_saveexec_b32 s58, vcc_lo
	s_cbranch_execz .LBB6_571
; %bb.573:                              ;   in Loop: Header=BB6_572 Depth=4
	s_cmpk_lt_i32 s57, 0x270f
	s_mov_b32 s59, -1
	s_cselect_b32 s61, -1, 0
	s_cmpk_gt_i32 s57, 0x270e
	s_cbranch_scc0 .LBB6_575
; %bb.574:                              ;   in Loop: Header=BB6_572 Depth=4
	s_trap 2
	ds_read_b64 v[52:53], v0
	s_andn2_b32 s57, s61, exec_lo
	s_mov_b32 s60, 0
	s_waitcnt vmcnt(0) lgkmcnt(0)
	s_waitcnt_vscnt null, 0x0
	flat_load_dword v49, v[52:53] glc dlc
	s_waitcnt vmcnt(0) lgkmcnt(0)
	buffer_gl1_inv
	buffer_gl0_inv
	v_cmp_eq_u32_e64 s14, 0, v49
	s_and_b32 s14, s14, exec_lo
	s_or_b32 s61, s57, s14
	s_mov_b32 s57, 0
	s_and_saveexec_b32 s62, s61
	s_cbranch_execz .LBB6_570
	s_branch .LBB6_569
.LBB6_575:                              ;   in Loop: Header=BB6_572 Depth=4
	s_add_i32 s57, s57, 1
	s_mov_b32 s60, -1
                                        ; implicit-def: $vgpr49
	s_and_saveexec_b32 s62, s61
	s_cbranch_execz .LBB6_570
	s_branch .LBB6_569
.LBB6_576:                              ;   in Loop: Header=BB6_566 Depth=3
	s_or_b32 exec_lo, exec_lo, s45
	s_xor_b32 s14, s46, -1
	s_and_saveexec_b32 s45, s14
	s_xor_b32 s14, exec_lo, s45
	s_cbranch_execz .LBB6_578
; %bb.577:                              ;   in Loop: Header=BB6_566 Depth=3
	v_or_b32_e32 v87, 64, v87
	s_waitcnt vmcnt(0) lgkmcnt(0)
	s_waitcnt_vscnt null, 0x0
	ds_write_b32 v0, v49
	s_trap 2
.LBB6_578:                              ;   in Loop: Header=BB6_566 Depth=3
	s_or_b32 exec_lo, exec_lo, s14
.LBB6_579:                              ;   in Loop: Header=BB6_566 Depth=3
	s_or_b32 exec_lo, exec_lo, s44
	v_and_b32_e32 v49, 0x100, v87
	v_and_b32_e32 v54, 7, v48
	s_mov_b32 s14, -1
	;;#ASMSTART
	s_wakeup
	;;#ASMEND
	v_cmp_ne_u32_e32 vcc_lo, 0, v49
                                        ; implicit-def: $vgpr48_vgpr49
	s_and_saveexec_b32 s44, vcc_lo
	s_cbranch_execz .LBB6_583
; %bb.580:                              ;   in Loop: Header=BB6_566 Depth=3
	v_mad_u64_u32 v[52:53], null, v54, 24, v[4:5]
	flat_load_dword v48, v[52:53]
	s_waitcnt vmcnt(0) lgkmcnt(0)
	v_cmp_eq_u32_e64 s14, 1, v48
	v_cmp_ne_u32_e32 vcc_lo, 1, v48
                                        ; implicit-def: $vgpr48_vgpr49
	s_and_saveexec_b32 s45, s14
	s_cbranch_execz .LBB6_582
; %bb.581:                              ;   in Loop: Header=BB6_566 Depth=3
	flat_load_dword v48, v[52:53] offset:4 glc dlc
	s_waitcnt vmcnt(0) lgkmcnt(0)
	v_ashrrev_i32_e32 v49, 31, v48
.LBB6_582:                              ;   in Loop: Header=BB6_566 Depth=3
	s_or_b32 exec_lo, exec_lo, s45
	s_orn2_b32 s14, vcc_lo, exec_lo
.LBB6_583:                              ;   in Loop: Header=BB6_566 Depth=3
	s_or_b32 exec_lo, exec_lo, s44
	s_and_saveexec_b32 s44, s14
; %bb.584:                              ;   in Loop: Header=BB6_566 Depth=3
	v_mad_i64_i32 v[48:49], null, v54, v96, 0
; %bb.585:                              ;   in Loop: Header=BB6_566 Depth=3
	s_or_b32 exec_lo, exec_lo, s44
	v_add_co_u32 v48, vcc_lo, v18, v48
	v_and_b32_e32 v52, 0x2000, v87
	v_add_co_ci_u32_e64 v49, null, v19, v49, vcc_lo
	s_mov_b32 s14, exec_lo
	ds_write_b64 v0, v[48:49] offset:720
	v_cmpx_ne_u32_e32 0, v52
	s_cbranch_execz .LBB6_587
; %bb.586:                              ;   in Loop: Header=BB6_566 Depth=3
	ds_read_b64 v[48:49], v0 offset:872
	s_waitcnt lgkmcnt(0)
	v_add_co_u32 v48, vcc_lo, v48, 1
	v_add_co_ci_u32_e64 v49, null, 0, v49, vcc_lo
	ds_write_b64 v0, v[48:49] offset:872
.LBB6_587:                              ;   in Loop: Header=BB6_566 Depth=3
	s_or_b32 exec_lo, exec_lo, s14
	v_mov_b32_e32 v49, v9
	v_mov_b32_e32 v48, v8
.LBB6_588:                              ;   in Loop: Header=BB6_566 Depth=3
	s_or_b32 exec_lo, exec_lo, s43
	s_xor_b32 s14, s42, -1
	s_and_b32 s14, exec_lo, s14
	s_or_b32 s41, s14, s41
	s_and_saveexec_b32 s14, s5
	s_cbranch_execz .LBB6_607
; %bb.589:                              ;   in Loop: Header=BB6_566 Depth=3
	s_and_saveexec_b32 s42, s24
	s_xor_b32 s42, exec_lo, s42
	s_cbranch_execz .LBB6_604
; %bb.590:                              ;   in Loop: Header=BB6_566 Depth=3
	s_and_saveexec_b32 s43, s7
	s_cbranch_execz .LBB6_603
; %bb.591:                              ;   in Loop: Header=BB6_566 Depth=3
	s_mov_b32 s45, exec_lo
	s_mov_b32 s44, exec_lo
	v_mbcnt_lo_u32_b32 v8, s45, 0
	s_waitcnt vmcnt(0) lgkmcnt(0)
	s_waitcnt_vscnt null, 0x0
	buffer_gl1_inv
	buffer_gl0_inv
	v_cmpx_eq_u32_e32 0, v8
	s_cbranch_execz .LBB6_593
; %bb.592:                              ;   in Loop: Header=BB6_566 Depth=3
	s_bcnt1_i32_b32 s45, s45
	v_mov_b32_e32 v9, v26
	v_mov_b32_e32 v8, s45
	ds_add_u64 v0, v[8:9]
	s_trap 2
.LBB6_593:                              ;   in Loop: Header=BB6_566 Depth=3
	s_or_b32 exec_lo, exec_lo, s44
	s_trap 2
	ds_read_b64 v[8:9], v0
	s_waitcnt lgkmcnt(0)
	buffer_gl0_inv
	v_add_co_u32 v10, vcc_lo, v10, v97
	v_add_co_ci_u32_e64 v11, null, 0, v11, vcc_lo
	s_mov_b32 s44, exec_lo
	v_cmpx_lt_u64_e64 v[8:9], v[10:11]
	s_cbranch_execz .LBB6_602
; %bb.594:                              ;   in Loop: Header=BB6_566 Depth=3
	s_mov_b32 s45, 0
	s_mov_b32 s56, 0
                                        ; implicit-def: $sgpr46
                                        ; implicit-def: $sgpr47
	s_inst_prefetch 0x1
	s_branch .LBB6_596
	.p2align	6
.LBB6_595:                              ;   in Loop: Header=BB6_596 Depth=4
	s_or_b32 exec_lo, exec_lo, s58
	s_and_b32 s57, exec_lo, s59
	s_or_b32 s45, s57, s45
	s_andn2_b32 s46, s46, exec_lo
	s_and_b32 s57, s47, exec_lo
	s_or_b32 s46, s46, s57
	s_andn2_b32 exec_lo, exec_lo, s45
	s_cbranch_execz .LBB6_600
.LBB6_596:                              ;   Parent Loop BB6_53 Depth=1
                                        ;     Parent Loop BB6_89 Depth=2
                                        ;       Parent Loop BB6_566 Depth=3
                                        ; =>      This Inner Loop Header: Depth=4
	s_add_i32 s56, s56, 1
	s_cmpk_lg_i32 s56, 0x2710
	s_cselect_b32 s57, -1, 0
	s_and_b32 vcc_lo, exec_lo, s57
	s_cbranch_vccz .LBB6_598
; %bb.597:                              ;   in Loop: Header=BB6_596 Depth=4
	s_mov_b32 s59, -1
	s_or_b32 s47, s47, exec_lo
	s_and_saveexec_b32 s58, s57
	s_cbranch_execz .LBB6_595
	s_branch .LBB6_599
	.p2align	6
.LBB6_598:                              ;   in Loop: Header=BB6_596 Depth=4
	s_trap 2
	ds_read_b64 v[8:9], v0
	s_andn2_b32 s57, s57, exec_lo
	s_mov_b32 s56, 0
	s_waitcnt lgkmcnt(0)
	flat_load_dword v8, v[8:9] glc dlc
	s_waitcnt vmcnt(0) lgkmcnt(0)
	buffer_gl1_inv
	buffer_gl0_inv
	v_cmp_eq_u32_e32 vcc_lo, 0, v8
	s_and_b32 s58, vcc_lo, exec_lo
	s_or_b32 s57, s57, s58
	s_mov_b32 s59, -1
	s_or_b32 s47, s47, exec_lo
	s_and_saveexec_b32 s58, s57
	s_cbranch_execz .LBB6_595
.LBB6_599:                              ;   in Loop: Header=BB6_596 Depth=4
	s_sleep 1
	s_trap 2
	ds_read_b64 v[8:9], v0
	s_waitcnt lgkmcnt(0)
	buffer_gl0_inv
	s_andn2_b32 s47, s47, exec_lo
	v_cmp_ge_u64_e32 vcc_lo, v[8:9], v[10:11]
	s_orn2_b32 s59, vcc_lo, exec_lo
	s_branch .LBB6_595
.LBB6_600:                              ;   in Loop: Header=BB6_566 Depth=3
	s_inst_prefetch 0x2
	s_or_b32 exec_lo, exec_lo, s45
	s_and_saveexec_b32 s45, s46
	s_xor_b32 s45, exec_lo, s45
	s_cbranch_execz .LBB6_602
; %bb.601:                              ;   in Loop: Header=BB6_566 Depth=3
	ds_write_b32 v0, v116
	s_trap 2
.LBB6_602:                              ;   in Loop: Header=BB6_566 Depth=3
	s_or_b32 exec_lo, exec_lo, s44
	;;#ASMSTART
	s_wakeup
	;;#ASMEND
.LBB6_603:                              ;   in Loop: Header=BB6_566 Depth=3
	s_or_b32 exec_lo, exec_lo, s43
.LBB6_604:                              ;   in Loop: Header=BB6_566 Depth=3
	s_andn2_saveexec_b32 s42, s42
	s_cbranch_execz .LBB6_606
; %bb.605:                              ;   in Loop: Header=BB6_566 Depth=3
	s_waitcnt vmcnt(0) lgkmcnt(0)
	s_waitcnt_vscnt null, 0x0
	buffer_gl1_inv
	buffer_gl0_inv
	s_barrier
.LBB6_606:                              ;   in Loop: Header=BB6_566 Depth=3
	s_or_b32 exec_lo, exec_lo, s42
.LBB6_607:                              ;   in Loop: Header=BB6_566 Depth=3
	s_or_b32 exec_lo, exec_lo, s14
	s_trap 2
	ds_read_b32 v8, v0
	v_sub_nc_u32_e32 v9, v27, v67
	v_min_i32_e32 v66, v66, v9
	v_cmp_lt_i32_e32 vcc_lo, 0, v66
	s_waitcnt lgkmcnt(0)
	v_readfirstlane_b32 s14, v8
	v_and_b32_e32 v8, 16, v87
	s_cmp_eq_u32 s14, 0
	v_cmp_ne_u32_e64 s14, 0, v8
	s_cselect_b32 s42, -1, 0
	s_and_b32 s42, vcc_lo, s42
	s_and_b32 s42, s14, s42
	s_and_saveexec_b32 s14, s42
	s_cbranch_execz .LBB6_609
; %bb.608:                              ;   in Loop: Header=BB6_566 Depth=3
	s_waitcnt vmcnt(0)
	s_waitcnt_vscnt null, 0x0
	buffer_gl1_inv
	buffer_gl0_inv
.LBB6_609:                              ;   in Loop: Header=BB6_566 Depth=3
	s_or_b32 exec_lo, exec_lo, s14
	v_and_b32_e32 v8, 32, v87
	s_mov_b32 s14, exec_lo
	v_cmpx_ne_u32_e32 0, v8
	s_cbranch_execz .LBB6_565
; %bb.610:                              ;   in Loop: Header=BB6_566 Depth=3
	v_add_co_u32 v48, vcc_lo, v48, 2
	v_add_co_ci_u32_e64 v49, null, 0, v49, vcc_lo
	s_waitcnt vmcnt(0)
	s_waitcnt_vscnt null, 0x0
	flat_store_dwordx2 v[16:17], v[48:49]
	s_branch .LBB6_565
.LBB6_611:                              ;   in Loop: Header=BB6_53 Depth=1
	s_or_b32 exec_lo, exec_lo, s29
.LBB6_612:                              ;   in Loop: Header=BB6_53 Depth=1
	s_or_b32 exec_lo, exec_lo, s28
.LBB6_613:                              ;   in Loop: Header=BB6_53 Depth=1
	s_or_b32 exec_lo, exec_lo, s27
	s_add_i32 s14, s16, 1
	s_add_i32 s20, s20, 1
	s_cmp_eq_u32 s16, s22
	s_cbranch_scc1 .LBB6_615
; %bb.614:                              ;   in Loop: Header=BB6_53 Depth=1
	s_mov_b32 s16, s14
	s_branch .LBB6_53
.LBB6_615:
	v_and_b32_e32 v0, 0x800, v87
	s_mov_b32 s5, exec_lo
	v_cmpx_eq_u32_e32 0, v0
	s_cbranch_execz .LBB6_648
; %bb.616:
	v_and_b32_e32 v0, 48, v87
	s_mov_b32 s4, exec_lo
	v_cmpx_ne_u32_e32 0, v0
	s_cbranch_execz .LBB6_618
; %bb.617:
	flat_store_dwordx2 v[14:15], v[48:49] offset:104
.LBB6_618:
	s_or_b32 exec_lo, exec_lo, s4
	v_and_b32_e32 v0, 0x88, v87
	s_mov_b32 s6, exec_lo
	v_cmpx_eq_u32_e32 0x88, v0
	s_cbranch_execz .LBB6_628
; %bb.619:
	v_add_nc_u32_e32 v0, 6, v48
	s_mov_b32 s7, 0
	v_and_b32_e32 v0, 7, v0
	v_mad_u64_u32 v[2:3], null, v0, 24, v[4:5]
	v_and_b32_e32 v0, 64, v87
	v_cmp_eq_u32_e64 s4, 0, v0
	flat_load_dwordx2 v[4:5], v[2:3] offset:8 glc dlc
	s_waitcnt vmcnt(0) lgkmcnt(0)
	v_cmp_ne_u64_e32 vcc_lo, -1, v[4:5]
	s_and_b32 s4, vcc_lo, s4
	s_and_b32 exec_lo, exec_lo, s4
	s_cbranch_execz .LBB6_628
; %bb.620:
	s_mov_b32 s11, 0
                                        ; implicit-def: $sgpr4
                                        ; implicit-def: $sgpr10
	s_inst_prefetch 0x1
	s_branch .LBB6_623
	.p2align	6
.LBB6_621:                              ;   in Loop: Header=BB6_623 Depth=1
	flat_load_dwordx2 v[4:5], v[2:3] offset:8 glc dlc
	s_waitcnt vmcnt(0)
	s_andn2_b32 s10, s10, exec_lo
	s_waitcnt lgkmcnt(0)
	v_cmp_eq_u64_e32 vcc_lo, -1, v[4:5]
	s_orn2_b32 s13, vcc_lo, exec_lo
.LBB6_622:                              ;   in Loop: Header=BB6_623 Depth=1
	s_or_b32 exec_lo, exec_lo, s14
	s_and_b32 s12, exec_lo, s13
	s_or_b32 s7, s12, s7
	s_andn2_b32 s4, s4, exec_lo
	s_and_b32 s12, s10, exec_lo
	s_or_b32 s4, s4, s12
	s_andn2_b32 exec_lo, exec_lo, s7
	s_cbranch_execz .LBB6_626
.LBB6_623:                              ; =>This Inner Loop Header: Depth=1
	s_cmpk_lt_i32 s11, 0x270f
	s_cselect_b32 s12, -1, 0
	s_and_b32 vcc_lo, exec_lo, s12
	s_cbranch_vccnz .LBB6_625
; %bb.624:                              ;   in Loop: Header=BB6_623 Depth=1
	s_trap 2
	ds_read_b64 v[4:5], v0
	s_andn2_b32 s12, s12, exec_lo
	s_mov_b32 s11, 0
	s_waitcnt lgkmcnt(0)
	s_waitcnt_vscnt null, 0x0
	flat_load_dword v0, v[4:5] glc dlc
	s_waitcnt vmcnt(0) lgkmcnt(0)
	buffer_gl1_inv
	buffer_gl0_inv
	v_cmp_eq_u32_e32 vcc_lo, 0, v0
	s_and_b32 s13, vcc_lo, exec_lo
	s_or_b32 s12, s12, s13
	s_mov_b32 s13, -1
	s_or_b32 s10, s10, exec_lo
	s_and_saveexec_b32 s14, s12
	s_cbranch_execz .LBB6_622
	s_branch .LBB6_621
	.p2align	6
.LBB6_625:                              ;   in Loop: Header=BB6_623 Depth=1
	s_add_i32 s11, s11, 1
                                        ; implicit-def: $vgpr0
	s_mov_b32 s13, -1
	s_or_b32 s10, s10, exec_lo
	s_and_saveexec_b32 s14, s12
	s_cbranch_execz .LBB6_622
	s_branch .LBB6_621
.LBB6_626:
	s_inst_prefetch 0x2
	s_or_b32 exec_lo, exec_lo, s7
	s_and_saveexec_b32 s7, s4
	s_xor_b32 s7, exec_lo, s7
	s_cbranch_execz .LBB6_628
; %bb.627:
	s_waitcnt_vscnt null, 0x0
	ds_write_b32 v0, v0
	s_trap 2
.LBB6_628:
	s_or_b32 exec_lo, exec_lo, s6
	v_and_b32_e32 v0, 0x2000, v87
	s_mov_b32 s4, exec_lo
	v_cmpx_ne_u32_e32 0, v0
	s_cbranch_execz .LBB6_630
; %bb.629:
	s_trap 2
	ds_read_b64 v[2:3], v0
	s_waitcnt lgkmcnt(0)
	flat_store_dwordx2 v[12:13], v[2:3] offset:16
.LBB6_630:
	s_or_b32 exec_lo, exec_lo, s4
	v_cmp_ne_u32_e32 vcc_lo, 32, v1
	s_and_b32 exec_lo, exec_lo, vcc_lo
	s_cbranch_execz .LBB6_648
; %bb.631:
	s_waitcnt vmcnt(0)
	v_cmp_ne_u32_sdwa s4, v1, v86 src0_sel:DWORD src1_sel:WORD_0
	s_and_saveexec_b32 s6, s4
	s_xor_b32 s4, exec_lo, s6
	s_cbranch_execz .LBB6_646
; %bb.632:
	v_and_b32_e32 v0, 31, v31
	s_mov_b32 s6, exec_lo
	v_cmpx_eq_u32_e32 0, v0
	s_cbranch_execz .LBB6_645
; %bb.633:
	s_mov_b32 s10, exec_lo
	s_mov_b32 s7, exec_lo
	v_mbcnt_lo_u32_b32 v0, s10, 0
	s_waitcnt lgkmcnt(0)
	s_waitcnt_vscnt null, 0x0
	buffer_gl1_inv
	buffer_gl0_inv
	v_cmpx_eq_u32_e32 0, v0
	s_cbranch_execz .LBB6_635
; %bb.634:
	s_bcnt1_i32_b32 s10, s10
	v_mov_b32_e32 v3, 0
	v_mov_b32_e32 v2, s10
	ds_add_u64 v0, v[2:3]
	s_trap 2
.LBB6_635:
	s_or_b32 exec_lo, exec_lo, s7
	s_trap 2
	ds_read_b64 v[2:3], v0
	s_waitcnt lgkmcnt(0)
	buffer_gl0_inv
	v_lshrrev_b32_e32 v0, 5, v1
	s_mov_b32 s7, exec_lo
	v_add_co_u32 v0, vcc_lo, v10, v0
	v_add_co_ci_u32_e64 v1, null, 0, v11, vcc_lo
	v_cmpx_lt_u64_e64 v[2:3], v[0:1]
	s_cbranch_execz .LBB6_644
; %bb.636:
	s_mov_b32 s10, 0
	s_mov_b32 s13, 0
                                        ; implicit-def: $sgpr11
                                        ; implicit-def: $sgpr12
	s_inst_prefetch 0x1
	s_branch .LBB6_638
	.p2align	6
.LBB6_637:                              ;   in Loop: Header=BB6_638 Depth=1
	s_or_b32 exec_lo, exec_lo, s15
	s_and_b32 s14, exec_lo, s16
	s_or_b32 s10, s14, s10
	s_andn2_b32 s11, s11, exec_lo
	s_and_b32 s14, s12, exec_lo
	s_or_b32 s11, s11, s14
	s_andn2_b32 exec_lo, exec_lo, s10
	s_cbranch_execz .LBB6_642
.LBB6_638:                              ; =>This Inner Loop Header: Depth=1
	s_add_i32 s13, s13, 1
	s_cmpk_lg_i32 s13, 0x2710
	s_cselect_b32 s14, -1, 0
	s_and_b32 vcc_lo, exec_lo, s14
	s_cbranch_vccz .LBB6_640
; %bb.639:                              ;   in Loop: Header=BB6_638 Depth=1
	s_mov_b32 s16, -1
	s_or_b32 s12, s12, exec_lo
	s_and_saveexec_b32 s15, s14
	s_cbranch_execz .LBB6_637
	s_branch .LBB6_641
.LBB6_640:                              ;   in Loop: Header=BB6_638 Depth=1
	s_trap 2
	ds_read_b64 v[2:3], v0
	s_andn2_b32 s14, s14, exec_lo
	s_mov_b32 s13, 0
	s_waitcnt lgkmcnt(0)
	flat_load_dword v2, v[2:3] glc dlc
	s_waitcnt vmcnt(0) lgkmcnt(0)
	buffer_gl1_inv
	buffer_gl0_inv
	v_cmp_eq_u32_e32 vcc_lo, 0, v2
	s_and_b32 s15, vcc_lo, exec_lo
	s_or_b32 s14, s14, s15
	s_mov_b32 s16, -1
	s_or_b32 s12, s12, exec_lo
	s_and_saveexec_b32 s15, s14
	s_cbranch_execz .LBB6_637
.LBB6_641:                              ;   in Loop: Header=BB6_638 Depth=1
	s_sleep 1
	s_trap 2
	ds_read_b64 v[2:3], v0
	s_waitcnt lgkmcnt(0)
	buffer_gl0_inv
	s_andn2_b32 s12, s12, exec_lo
	v_cmp_ge_u64_e32 vcc_lo, v[2:3], v[0:1]
	s_orn2_b32 s16, vcc_lo, exec_lo
	s_branch .LBB6_637
.LBB6_642:
	s_inst_prefetch 0x2
	s_or_b32 exec_lo, exec_lo, s10
	s_and_saveexec_b32 s10, s11
	s_xor_b32 s10, exec_lo, s10
	s_cbranch_execz .LBB6_644
; %bb.643:
	v_mov_b32_e32 v0, 1
	ds_write_b32 v0, v0
	s_trap 2
.LBB6_644:
	s_or_b32 exec_lo, exec_lo, s7
	;;#ASMSTART
	s_wakeup
	;;#ASMEND
.LBB6_645:
	s_or_b32 exec_lo, exec_lo, s6
.LBB6_646:
	s_andn2_saveexec_b32 s4, s4
	s_cbranch_execz .LBB6_648
; %bb.647:
	s_waitcnt lgkmcnt(0)
	s_waitcnt_vscnt null, 0x0
	buffer_gl1_inv
	buffer_gl0_inv
	s_barrier
.LBB6_648:
	s_or_b32 exec_lo, exec_lo, s5
.LBB6_649:
	s_andn2_saveexec_b32 s25, s19
	s_cbranch_execz .LBB6_651
; %bb.650:
	s_getpc_b64 s[4:5]
	s_add_u32 s4, s4, __PRETTY_FUNCTION__._ZN10PrimitivesIa7FuncSumIaE12FanSymmetricILi1EELi0E11ProtoSimpleILi2ELi2ELi0ELi4ELi0ELi0EELi0ELb0ELi0ELi0ELi0EEC2EiiPKiS8_PKvPvmhhhP15ncclDevWorkCollP14ncclDevWorkP2pii@rel32@lo+4
	s_addc_u32 s5, s5, __PRETTY_FUNCTION__._ZN10PrimitivesIa7FuncSumIaE12FanSymmetricILi1EELi0E11ProtoSimpleILi2ELi2ELi0ELi4ELi0ELi0EELi0ELb0ELi0ELi0ELi0EEC2EiiPKiS8_PKvPvmhhhP15ncclDevWorkCollP14ncclDevWorkP2pii@rel32@hi+12
	v_mov_b32_e32 v0, s4
	v_mov_b32_e32 v1, s5
	s_getpc_b64 s[6:7]
	s_add_u32 s6, s6, __assert_fail@rel32@lo+4
	s_addc_u32 s7, s7, __assert_fail@rel32@hi+12
	s_swappc_b64 s[30:31], s[6:7]
	; divergent unreachable
.LBB6_651:
	s_or_b32 exec_lo, exec_lo, s25
	s_clause 0x27
	buffer_load_dword v111, off, s[0:3], s33
	buffer_load_dword v110, off, s[0:3], s33 offset:4
	buffer_load_dword v109, off, s[0:3], s33 offset:8
	;; [unrolled: 1-line block ×39, first 2 shown]
	v_readlane_b32 s30, v120, 0
	v_readlane_b32 s31, v120, 1
	s_mov_b32 s32, s33
	s_or_saveexec_b32 s4, -1
	buffer_load_dword v120, off, s[0:3], s33 offset:160 ; 4-byte Folded Reload
	s_mov_b32 exec_lo, s4
	s_mov_b32 s33, s74
	s_waitcnt vmcnt(0) lgkmcnt(0)
	s_setpc_b64 s[30:31]
.Lfunc_end6:
	.size	_ZN12_GLOBAL__N_17runRingIa7FuncSumIaE11ProtoSimpleILi2ELi2ELi0ELi4ELi0ELi0EELi0ELi4ELi0EEEviiP15ncclDevWorkColl, .Lfunc_end6-_ZN12_GLOBAL__N_17runRingIa7FuncSumIaE11ProtoSimpleILi2ELi2ELi0ELi4ELi0ELi0EELi0ELi4ELi0EEEviiP15ncclDevWorkColl
                                        ; -- End function
	.set .L_ZN12_GLOBAL__N_17runRingIa7FuncSumIaE11ProtoSimpleILi2ELi2ELi0ELi4ELi0ELi0EELi0ELi4ELi0EEEviiP15ncclDevWorkColl.num_vgpr, max(121, .L__assert_fail.num_vgpr)
	.set .L_ZN12_GLOBAL__N_17runRingIa7FuncSumIaE11ProtoSimpleILi2ELi2ELi0ELi4ELi0ELi0EELi0ELi4ELi0EEEviiP15ncclDevWorkColl.num_agpr, max(0, .L__assert_fail.num_agpr)
	.set .L_ZN12_GLOBAL__N_17runRingIa7FuncSumIaE11ProtoSimpleILi2ELi2ELi0ELi4ELi0ELi0EELi0ELi4ELi0EEEviiP15ncclDevWorkColl.numbered_sgpr, max(75, .L__assert_fail.numbered_sgpr)
	.set .L_ZN12_GLOBAL__N_17runRingIa7FuncSumIaE11ProtoSimpleILi2ELi2ELi0ELi4ELi0ELi0EELi0ELi4ELi0EEEviiP15ncclDevWorkColl.num_named_barrier, max(0, .L__assert_fail.num_named_barrier)
	.set .L_ZN12_GLOBAL__N_17runRingIa7FuncSumIaE11ProtoSimpleILi2ELi2ELi0ELi4ELi0ELi0EELi0ELi4ELi0EEEviiP15ncclDevWorkColl.private_seg_size, 176+max(.L__assert_fail.private_seg_size)
	.set .L_ZN12_GLOBAL__N_17runRingIa7FuncSumIaE11ProtoSimpleILi2ELi2ELi0ELi4ELi0ELi0EELi0ELi4ELi0EEEviiP15ncclDevWorkColl.uses_vcc, or(1, .L__assert_fail.uses_vcc)
	.set .L_ZN12_GLOBAL__N_17runRingIa7FuncSumIaE11ProtoSimpleILi2ELi2ELi0ELi4ELi0ELi0EELi0ELi4ELi0EEEviiP15ncclDevWorkColl.uses_flat_scratch, or(1, .L__assert_fail.uses_flat_scratch)
	.set .L_ZN12_GLOBAL__N_17runRingIa7FuncSumIaE11ProtoSimpleILi2ELi2ELi0ELi4ELi0ELi0EELi0ELi4ELi0EEEviiP15ncclDevWorkColl.has_dyn_sized_stack, or(0, .L__assert_fail.has_dyn_sized_stack)
	.set .L_ZN12_GLOBAL__N_17runRingIa7FuncSumIaE11ProtoSimpleILi2ELi2ELi0ELi4ELi0ELi0EELi0ELi4ELi0EEEviiP15ncclDevWorkColl.has_recursion, or(1, .L__assert_fail.has_recursion)
	.set .L_ZN12_GLOBAL__N_17runRingIa7FuncSumIaE11ProtoSimpleILi2ELi2ELi0ELi4ELi0ELi0EELi0ELi4ELi0EEEviiP15ncclDevWorkColl.has_indirect_call, or(0, .L__assert_fail.has_indirect_call)
	.section	.AMDGPU.csdata,"",@progbits
; Function info:
; codeLenInByte = 27360
; TotalNumSgprs: 77
; NumVgprs: 121
; ScratchSize: 240
; MemoryBound: 0
	.text
	.p2align	2                               ; -- Begin function _Z50ncclDevFunc_AlltoAllPivot_RING_SIMPLE_Sum_i8_0_0_4v
	.type	_Z50ncclDevFunc_AlltoAllPivot_RING_SIMPLE_Sum_i8_0_0_4v,@function
_Z50ncclDevFunc_AlltoAllPivot_RING_SIMPLE_Sum_i8_0_0_4v: ; @_Z50ncclDevFunc_AlltoAllPivot_RING_SIMPLE_Sum_i8_0_0_4v
; %bb.0:
	s_waitcnt vmcnt(0) expcnt(0) lgkmcnt(0)
	s_mov_b32 s88, s33
	s_mov_b32 s33, s32
	s_or_saveexec_b32 s4, -1
	buffer_store_dword v43, off, s[0:3], s33 offset:16 ; 4-byte Folded Spill
	s_mov_b32 exec_lo, s4
	s_addk_i32 s32, 0x400
	buffer_store_dword v40, off, s[0:3], s33 offset:12 ; 4-byte Folded Spill
	buffer_store_dword v41, off, s[0:3], s33 offset:8 ; 4-byte Folded Spill
	;; [unrolled: 1-line block ×3, first 2 shown]
	buffer_store_dword v120, off, s[0:3], s33 ; 4-byte Folded Spill
	v_writelane_b32 v43, s30, 0
	v_writelane_b32 v43, s31, 1
	s_trap 2
	ds_read_b32 v0, v0
	v_mov_b32_e32 v40, v31
	s_waitcnt lgkmcnt(0)
	v_cmp_gt_i32_e32 vcc_lo, 1, v0
	s_cbranch_vccnz .LBB7_8
; %bb.1:
	v_and_b32_e32 v41, 0x3ff, v40
	v_mov_b32_e32 v42, 5
	s_mov_b32 s75, s12
	s_mov_b64 s[76:77], s[8:9]
	s_mov_b32 s78, 0
	s_inst_prefetch 0x1
	s_branch .LBB7_3
	.p2align	6
.LBB7_2:                                ;   in Loop: Header=BB7_3 Depth=1
	s_or_b32 exec_lo, exec_lo, s79
	s_trap 2
	ds_read_b32 v0, v0
	s_add_i32 s78, s78, 1
	s_waitcnt lgkmcnt(0)
	v_cmp_lt_i32_e32 vcc_lo, s78, v0
	s_cbranch_vccz .LBB7_8
.LBB7_3:                                ; =>This Inner Loop Header: Depth=1
	s_trap 2
	ds_read_b32 v0, v0
	s_cmp_eq_u32 s78, 0
	s_cbranch_scc1 .LBB7_6
; %bb.4:                                ;   in Loop: Header=BB7_3 Depth=1
	s_trap 2
	s_waitcnt lgkmcnt(0)
	ds_read_b32 v1, v0
	s_waitcnt lgkmcnt(0)
	v_xor_b32_e32 v1, v1, v0
	v_and_b32_e32 v1, 0xff0000, v1
	v_cmp_eq_u32_e32 vcc_lo, 0, v1
	s_cbranch_vccnz .LBB7_6
; %bb.5:                                ;   in Loop: Header=BB7_3 Depth=1
	s_waitcnt_vscnt null, 0x0
	s_barrier
	buffer_gl0_inv
	ds_read_b32 v0, v0
.LBB7_6:                                ;   in Loop: Header=BB7_3 Depth=1
	s_waitcnt lgkmcnt(0)
	v_lshlrev_b32_sdwa v1, v42, v0 dst_sel:DWORD dst_unused:UNUSED_PAD src0_sel:DWORD src1_sel:BYTE_2
	s_mov_b32 s79, exec_lo
	v_cmpx_lt_u32_e64 v41, v1
	s_cbranch_execz .LBB7_2
; %bb.7:                                ;   in Loop: Header=BB7_3 Depth=1
	s_mov_b64 s[4:5], src_shared_base
	v_mov_b32_e32 v31, v40
	v_mov_b32_e32 v0, v41
	;; [unrolled: 1-line block ×3, first 2 shown]
	s_getpc_b64 s[6:7]
	s_add_u32 s6, s6, _ZN12_GLOBAL__N_17runRingIa7FuncSumIaE11ProtoSimpleILi2ELi2ELi0ELi4ELi0ELi0EELi0ELi4ELi0EEEviiP15ncclDevWorkColl@rel32@lo+4
	s_addc_u32 s7, s7, _ZN12_GLOBAL__N_17runRingIa7FuncSumIaE11ProtoSimpleILi2ELi2ELi0ELi4ELi0ELi0EELi0ELi4ELi0EEEviiP15ncclDevWorkColl@rel32@hi+12
	s_mov_b64 s[8:9], s[76:77]
	s_mov_b32 s12, s75
	s_swappc_b64 s[30:31], s[6:7]
	s_branch .LBB7_2
.LBB7_8:
	s_inst_prefetch 0x2
	s_clause 0x3
	buffer_load_dword v120, off, s[0:3], s33
	buffer_load_dword v42, off, s[0:3], s33 offset:4
	buffer_load_dword v41, off, s[0:3], s33 offset:8
	buffer_load_dword v40, off, s[0:3], s33 offset:12
	v_readlane_b32 s30, v43, 0
	v_readlane_b32 s31, v43, 1
	s_mov_b32 s32, s33
	s_or_saveexec_b32 s4, -1
	buffer_load_dword v43, off, s[0:3], s33 offset:16 ; 4-byte Folded Reload
	s_mov_b32 exec_lo, s4
	s_mov_b32 s33, s88
	s_waitcnt vmcnt(0)
	s_setpc_b64 s[30:31]
.Lfunc_end7:
	.size	_Z50ncclDevFunc_AlltoAllPivot_RING_SIMPLE_Sum_i8_0_0_4v, .Lfunc_end7-_Z50ncclDevFunc_AlltoAllPivot_RING_SIMPLE_Sum_i8_0_0_4v
                                        ; -- End function
	.set .L_Z50ncclDevFunc_AlltoAllPivot_RING_SIMPLE_Sum_i8_0_0_4v.num_vgpr, max(121, .L_ZN12_GLOBAL__N_17runRingIa7FuncSumIaE11ProtoSimpleILi2ELi2ELi0ELi4ELi0ELi0EELi0ELi4ELi0EEEviiP15ncclDevWorkColl.num_vgpr)
	.set .L_Z50ncclDevFunc_AlltoAllPivot_RING_SIMPLE_Sum_i8_0_0_4v.num_agpr, max(0, .L_ZN12_GLOBAL__N_17runRingIa7FuncSumIaE11ProtoSimpleILi2ELi2ELi0ELi4ELi0ELi0EELi0ELi4ELi0EEEviiP15ncclDevWorkColl.num_agpr)
	.set .L_Z50ncclDevFunc_AlltoAllPivot_RING_SIMPLE_Sum_i8_0_0_4v.numbered_sgpr, max(89, .L_ZN12_GLOBAL__N_17runRingIa7FuncSumIaE11ProtoSimpleILi2ELi2ELi0ELi4ELi0ELi0EELi0ELi4ELi0EEEviiP15ncclDevWorkColl.numbered_sgpr)
	.set .L_Z50ncclDevFunc_AlltoAllPivot_RING_SIMPLE_Sum_i8_0_0_4v.num_named_barrier, max(0, .L_ZN12_GLOBAL__N_17runRingIa7FuncSumIaE11ProtoSimpleILi2ELi2ELi0ELi4ELi0ELi0EELi0ELi4ELi0EEEviiP15ncclDevWorkColl.num_named_barrier)
	.set .L_Z50ncclDevFunc_AlltoAllPivot_RING_SIMPLE_Sum_i8_0_0_4v.private_seg_size, 32+max(.L_ZN12_GLOBAL__N_17runRingIa7FuncSumIaE11ProtoSimpleILi2ELi2ELi0ELi4ELi0ELi0EELi0ELi4ELi0EEEviiP15ncclDevWorkColl.private_seg_size)
	.set .L_Z50ncclDevFunc_AlltoAllPivot_RING_SIMPLE_Sum_i8_0_0_4v.uses_vcc, or(1, .L_ZN12_GLOBAL__N_17runRingIa7FuncSumIaE11ProtoSimpleILi2ELi2ELi0ELi4ELi0ELi0EELi0ELi4ELi0EEEviiP15ncclDevWorkColl.uses_vcc)
	.set .L_Z50ncclDevFunc_AlltoAllPivot_RING_SIMPLE_Sum_i8_0_0_4v.uses_flat_scratch, or(0, .L_ZN12_GLOBAL__N_17runRingIa7FuncSumIaE11ProtoSimpleILi2ELi2ELi0ELi4ELi0ELi0EELi0ELi4ELi0EEEviiP15ncclDevWorkColl.uses_flat_scratch)
	.set .L_Z50ncclDevFunc_AlltoAllPivot_RING_SIMPLE_Sum_i8_0_0_4v.has_dyn_sized_stack, or(0, .L_ZN12_GLOBAL__N_17runRingIa7FuncSumIaE11ProtoSimpleILi2ELi2ELi0ELi4ELi0ELi0EELi0ELi4ELi0EEEviiP15ncclDevWorkColl.has_dyn_sized_stack)
	.set .L_Z50ncclDevFunc_AlltoAllPivot_RING_SIMPLE_Sum_i8_0_0_4v.has_recursion, or(1, .L_ZN12_GLOBAL__N_17runRingIa7FuncSumIaE11ProtoSimpleILi2ELi2ELi0ELi4ELi0ELi0EELi0ELi4ELi0EEEviiP15ncclDevWorkColl.has_recursion)
	.set .L_Z50ncclDevFunc_AlltoAllPivot_RING_SIMPLE_Sum_i8_0_0_4v.has_indirect_call, or(0, .L_ZN12_GLOBAL__N_17runRingIa7FuncSumIaE11ProtoSimpleILi2ELi2ELi0ELi4ELi0ELi0EELi0ELi4ELi0EEEviiP15ncclDevWorkColl.has_indirect_call)
	.section	.AMDGPU.csdata,"",@progbits
; Function info:
; codeLenInByte = 476
; TotalNumSgprs: 91
; NumVgprs: 121
; ScratchSize: 272
; MemoryBound: 0
	.text
	.p2alignl 6, 3214868480
	.fill 48, 4, 3214868480
	.section	.AMDGPU.gpr_maximums,"",@progbits
	.set amdgpu.max_num_vgpr, 121
	.set amdgpu.max_num_agpr, 0
	.set amdgpu.max_num_sgpr, 89
	.text
	.type	__const.__assert_fail.fmt,@object ; @__const.__assert_fail.fmt
	.section	.rodata.str1.16,"aMS",@progbits,1
	.p2align	4, 0x0
__const.__assert_fail.fmt:
	.asciz	"%s:%u: %s: Device-side assertion `%s' failed.\n"
	.size	__const.__assert_fail.fmt, 47

	.type	.str.3,@object                  ; @.str.3
	.section	.rodata.str1.1,"aMS",@progbits,1
.str.3:
	.asciz	"2*(nrecv+nsend) <= nthreads"
	.size	.str.3, 28

	.type	.str.4,@object                  ; @.str.4
.str.4:
	.asciz	"/root/src/amdgpu-assembly/repos/ROCm__rccl/hipify/src/device/prims_simple.h"
	.size	.str.4, 76

	.type	__PRETTY_FUNCTION__._ZN10PrimitivesIa7FuncSumIaE12FanSymmetricILi1EELi0E11ProtoSimpleILi2ELi2ELi0ELi1ELi0ELi0EELi0ELb0ELi0ELi0ELi0EEC2EiiPKiS8_PKvPvmhhhP15ncclDevWorkCollP14ncclDevWorkP2pii,@object ; @__PRETTY_FUNCTION__._ZN10PrimitivesIa7FuncSumIaE12FanSymmetricILi1EELi0E11ProtoSimpleILi2ELi2ELi0ELi1ELi0ELi0EELi0ELb0ELi0ELi0ELi0EEC2EiiPKiS8_PKvPvmhhhP15ncclDevWorkCollP14ncclDevWorkP2pii
__PRETTY_FUNCTION__._ZN10PrimitivesIa7FuncSumIaE12FanSymmetricILi1EELi0E11ProtoSimpleILi2ELi2ELi0ELi1ELi0ELi0EELi0ELb0ELi0ELi0ELi0EEC2EiiPKiS8_PKvPvmhhhP15ncclDevWorkCollP14ncclDevWorkP2pii:
	.asciz	"Primitives<signed char, FuncSum<signed char>, FanSymmetric<1>, 0, ProtoSimple<2, 2, 0, 1>, 0>::Primitives(int, int, const int *, const int *, const void *, void *, uint64_t, uint8_t, uint8_t, uint8_t, struct ncclDevWorkColl *, struct ncclDevWorkP2p *, int, int) [T = signed char, RedOp = FuncSum<signed char>, Fan = FanSymmetric<1>, Direct = 0, Proto = ProtoSimple<2, 2, 0, 1>, P2p = 0, isNetOffload = false, Metadata = 0, Pipeline = 0, useAcc = 0]"
	.size	__PRETTY_FUNCTION__._ZN10PrimitivesIa7FuncSumIaE12FanSymmetricILi1EELi0E11ProtoSimpleILi2ELi2ELi0ELi1ELi0ELi0EELi0ELb0ELi0ELi0ELi0EEC2EiiPKiS8_PKvPvmhhhP15ncclDevWorkCollP14ncclDevWorkP2pii, 449

	.type	__PRETTY_FUNCTION__._ZN10PrimitivesIa7FuncSumIaE12FanSymmetricILi1EELi0E11ProtoSimpleILi2ELi2ELi0ELi2ELi0ELi0EELi0ELb0ELi0ELi0ELi0EEC2EiiPKiS8_PKvPvmhhhP15ncclDevWorkCollP14ncclDevWorkP2pii,@object ; @__PRETTY_FUNCTION__._ZN10PrimitivesIa7FuncSumIaE12FanSymmetricILi1EELi0E11ProtoSimpleILi2ELi2ELi0ELi2ELi0ELi0EELi0ELb0ELi0ELi0ELi0EEC2EiiPKiS8_PKvPvmhhhP15ncclDevWorkCollP14ncclDevWorkP2pii
__PRETTY_FUNCTION__._ZN10PrimitivesIa7FuncSumIaE12FanSymmetricILi1EELi0E11ProtoSimpleILi2ELi2ELi0ELi2ELi0ELi0EELi0ELb0ELi0ELi0ELi0EEC2EiiPKiS8_PKvPvmhhhP15ncclDevWorkCollP14ncclDevWorkP2pii:
	.asciz	"Primitives<signed char, FuncSum<signed char>, FanSymmetric<1>, 0, ProtoSimple<2, 2, 0, 2>, 0>::Primitives(int, int, const int *, const int *, const void *, void *, uint64_t, uint8_t, uint8_t, uint8_t, struct ncclDevWorkColl *, struct ncclDevWorkP2p *, int, int) [T = signed char, RedOp = FuncSum<signed char>, Fan = FanSymmetric<1>, Direct = 0, Proto = ProtoSimple<2, 2, 0, 2>, P2p = 0, isNetOffload = false, Metadata = 0, Pipeline = 0, useAcc = 0]"
	.size	__PRETTY_FUNCTION__._ZN10PrimitivesIa7FuncSumIaE12FanSymmetricILi1EELi0E11ProtoSimpleILi2ELi2ELi0ELi2ELi0ELi0EELi0ELb0ELi0ELi0ELi0EEC2EiiPKiS8_PKvPvmhhhP15ncclDevWorkCollP14ncclDevWorkP2pii, 449

	.type	__PRETTY_FUNCTION__._ZN10PrimitivesIa7FuncSumIaE12FanSymmetricILi1EELi0E11ProtoSimpleILi2ELi2ELi0ELi4ELi0ELi0EELi0ELb0ELi0ELi0ELi0EEC2EiiPKiS8_PKvPvmhhhP15ncclDevWorkCollP14ncclDevWorkP2pii,@object ; @__PRETTY_FUNCTION__._ZN10PrimitivesIa7FuncSumIaE12FanSymmetricILi1EELi0E11ProtoSimpleILi2ELi2ELi0ELi4ELi0ELi0EELi0ELb0ELi0ELi0ELi0EEC2EiiPKiS8_PKvPvmhhhP15ncclDevWorkCollP14ncclDevWorkP2pii
__PRETTY_FUNCTION__._ZN10PrimitivesIa7FuncSumIaE12FanSymmetricILi1EELi0E11ProtoSimpleILi2ELi2ELi0ELi4ELi0ELi0EELi0ELb0ELi0ELi0ELi0EEC2EiiPKiS8_PKvPvmhhhP15ncclDevWorkCollP14ncclDevWorkP2pii:
	.asciz	"Primitives<signed char, FuncSum<signed char>, FanSymmetric<1>, 0, ProtoSimple<2, 2, 0, 4>, 0>::Primitives(int, int, const int *, const int *, const void *, void *, uint64_t, uint8_t, uint8_t, uint8_t, struct ncclDevWorkColl *, struct ncclDevWorkP2p *, int, int) [T = signed char, RedOp = FuncSum<signed char>, Fan = FanSymmetric<1>, Direct = 0, Proto = ProtoSimple<2, 2, 0, 4>, P2p = 0, isNetOffload = false, Metadata = 0, Pipeline = 0, useAcc = 0]"
	.size	__PRETTY_FUNCTION__._ZN10PrimitivesIa7FuncSumIaE12FanSymmetricILi1EELi0E11ProtoSimpleILi2ELi2ELi0ELi4ELi0ELi0EELi0ELb0ELi0ELi0ELi0EEC2EiiPKiS8_PKvPvmhhhP15ncclDevWorkCollP14ncclDevWorkP2pii, 449

	.type	__hip_cuid_c679218f136ef986,@object ; @__hip_cuid_c679218f136ef986
	.section	.bss,"aw",@nobits
	.globl	__hip_cuid_c679218f136ef986
__hip_cuid_c679218f136ef986:
	.byte	0                               ; 0x0
	.size	__hip_cuid_c679218f136ef986, 1

	.ident	"AMD clang version 22.0.0git (https://github.com/RadeonOpenCompute/llvm-project roc-7.2.4 26084 f58b06dce1f9c15707c5f808fd002e18c2accf7e)"
	.section	".note.GNU-stack","",@progbits
	.addrsig
	.addrsig_sym _Z50ncclDevFunc_AlltoAllPivot_RING_SIMPLE_Sum_i8_0_0_1v
	.addrsig_sym _Z50ncclDevFunc_AlltoAllPivot_RING_SIMPLE_Sum_i8_0_0_2v
	.addrsig_sym _Z50ncclDevFunc_AlltoAllPivot_RING_SIMPLE_Sum_i8_0_0_4v
	.addrsig_sym ncclShmem
	.addrsig_sym __hip_cuid_c679218f136ef986
	.amdgpu_metadata
---
amdhsa.kernels:  []
amdhsa.target:   amdgcn-amd-amdhsa--gfx1030
amdhsa.version:
  - 1
  - 2
...

	.end_amdgpu_metadata
